;; amdgpu-corpus repo=ROCm/rocFFT kind=compiled arch=gfx1201 opt=O3
	.text
	.amdgcn_target "amdgcn-amd-amdhsa--gfx1201"
	.amdhsa_code_object_version 6
	.protected	fft_rtc_fwd_len1274_factors_2_13_7_7_wgs_182_tpt_182_halfLds_dp_ip_CI_unitstride_sbrr_C2R_dirReg ; -- Begin function fft_rtc_fwd_len1274_factors_2_13_7_7_wgs_182_tpt_182_halfLds_dp_ip_CI_unitstride_sbrr_C2R_dirReg
	.globl	fft_rtc_fwd_len1274_factors_2_13_7_7_wgs_182_tpt_182_halfLds_dp_ip_CI_unitstride_sbrr_C2R_dirReg
	.p2align	8
	.type	fft_rtc_fwd_len1274_factors_2_13_7_7_wgs_182_tpt_182_halfLds_dp_ip_CI_unitstride_sbrr_C2R_dirReg,@function
fft_rtc_fwd_len1274_factors_2_13_7_7_wgs_182_tpt_182_halfLds_dp_ip_CI_unitstride_sbrr_C2R_dirReg: ; @fft_rtc_fwd_len1274_factors_2_13_7_7_wgs_182_tpt_182_halfLds_dp_ip_CI_unitstride_sbrr_C2R_dirReg
; %bb.0:
	s_clause 0x2
	s_load_b128 s[4:7], s[0:1], 0x0
	s_load_b64 s[8:9], s[0:1], 0x50
	s_load_b64 s[10:11], s[0:1], 0x18
	v_mul_u32_u24_e32 v1, 0x169, v0
	v_mov_b32_e32 v3, 0
	s_delay_alu instid0(VALU_DEP_2) | instskip(NEXT) | instid1(VALU_DEP_1)
	v_lshrrev_b32_e32 v1, 16, v1
	v_add_nc_u32_e32 v5, ttmp9, v1
	v_mov_b32_e32 v1, 0
	v_mov_b32_e32 v2, 0
	;; [unrolled: 1-line block ×3, first 2 shown]
	s_wait_kmcnt 0x0
	v_cmp_lt_u64_e64 s2, s[6:7], 2
	s_delay_alu instid0(VALU_DEP_1)
	s_and_b32 vcc_lo, exec_lo, s2
	s_cbranch_vccnz .LBB0_8
; %bb.1:
	s_load_b64 s[2:3], s[0:1], 0x10
	v_mov_b32_e32 v1, 0
	v_mov_b32_e32 v2, 0
	s_add_nc_u64 s[12:13], s[10:11], 8
	s_mov_b64 s[14:15], 1
	s_wait_kmcnt 0x0
	s_add_nc_u64 s[16:17], s[2:3], 8
	s_mov_b32 s3, 0
.LBB0_2:                                ; =>This Inner Loop Header: Depth=1
	s_load_b64 s[18:19], s[16:17], 0x0
                                        ; implicit-def: $vgpr7_vgpr8
	s_mov_b32 s2, exec_lo
	s_wait_kmcnt 0x0
	v_or_b32_e32 v4, s19, v6
	s_delay_alu instid0(VALU_DEP_1)
	v_cmpx_ne_u64_e32 0, v[3:4]
	s_wait_alu 0xfffe
	s_xor_b32 s20, exec_lo, s2
	s_cbranch_execz .LBB0_4
; %bb.3:                                ;   in Loop: Header=BB0_2 Depth=1
	s_cvt_f32_u32 s2, s18
	s_cvt_f32_u32 s21, s19
	s_sub_nc_u64 s[24:25], 0, s[18:19]
	s_wait_alu 0xfffe
	s_delay_alu instid0(SALU_CYCLE_1) | instskip(SKIP_1) | instid1(SALU_CYCLE_2)
	s_fmamk_f32 s2, s21, 0x4f800000, s2
	s_wait_alu 0xfffe
	v_s_rcp_f32 s2, s2
	s_delay_alu instid0(TRANS32_DEP_1) | instskip(SKIP_1) | instid1(SALU_CYCLE_2)
	s_mul_f32 s2, s2, 0x5f7ffffc
	s_wait_alu 0xfffe
	s_mul_f32 s21, s2, 0x2f800000
	s_wait_alu 0xfffe
	s_delay_alu instid0(SALU_CYCLE_2) | instskip(SKIP_1) | instid1(SALU_CYCLE_2)
	s_trunc_f32 s21, s21
	s_wait_alu 0xfffe
	s_fmamk_f32 s2, s21, 0xcf800000, s2
	s_cvt_u32_f32 s23, s21
	s_wait_alu 0xfffe
	s_delay_alu instid0(SALU_CYCLE_1) | instskip(SKIP_1) | instid1(SALU_CYCLE_2)
	s_cvt_u32_f32 s22, s2
	s_wait_alu 0xfffe
	s_mul_u64 s[26:27], s[24:25], s[22:23]
	s_wait_alu 0xfffe
	s_mul_hi_u32 s29, s22, s27
	s_mul_i32 s28, s22, s27
	s_mul_hi_u32 s2, s22, s26
	s_mul_i32 s30, s23, s26
	s_wait_alu 0xfffe
	s_add_nc_u64 s[28:29], s[2:3], s[28:29]
	s_mul_hi_u32 s21, s23, s26
	s_mul_hi_u32 s31, s23, s27
	s_add_co_u32 s2, s28, s30
	s_wait_alu 0xfffe
	s_add_co_ci_u32 s2, s29, s21
	s_mul_i32 s26, s23, s27
	s_add_co_ci_u32 s27, s31, 0
	s_wait_alu 0xfffe
	s_add_nc_u64 s[26:27], s[2:3], s[26:27]
	s_wait_alu 0xfffe
	v_add_co_u32 v4, s2, s22, s26
	s_delay_alu instid0(VALU_DEP_1) | instskip(SKIP_1) | instid1(VALU_DEP_1)
	s_cmp_lg_u32 s2, 0
	s_add_co_ci_u32 s23, s23, s27
	v_readfirstlane_b32 s22, v4
	s_wait_alu 0xfffe
	s_delay_alu instid0(VALU_DEP_1)
	s_mul_u64 s[24:25], s[24:25], s[22:23]
	s_wait_alu 0xfffe
	s_mul_hi_u32 s27, s22, s25
	s_mul_i32 s26, s22, s25
	s_mul_hi_u32 s2, s22, s24
	s_mul_i32 s28, s23, s24
	s_wait_alu 0xfffe
	s_add_nc_u64 s[26:27], s[2:3], s[26:27]
	s_mul_hi_u32 s21, s23, s24
	s_mul_hi_u32 s22, s23, s25
	s_wait_alu 0xfffe
	s_add_co_u32 s2, s26, s28
	s_add_co_ci_u32 s2, s27, s21
	s_mul_i32 s24, s23, s25
	s_add_co_ci_u32 s25, s22, 0
	s_wait_alu 0xfffe
	s_add_nc_u64 s[24:25], s[2:3], s[24:25]
	s_wait_alu 0xfffe
	v_add_co_u32 v4, s2, v4, s24
	s_delay_alu instid0(VALU_DEP_1) | instskip(SKIP_1) | instid1(VALU_DEP_1)
	s_cmp_lg_u32 s2, 0
	s_add_co_ci_u32 s2, s23, s25
	v_mul_hi_u32 v13, v5, v4
	s_wait_alu 0xfffe
	v_mad_co_u64_u32 v[7:8], null, v5, s2, 0
	v_mad_co_u64_u32 v[9:10], null, v6, v4, 0
	;; [unrolled: 1-line block ×3, first 2 shown]
	s_delay_alu instid0(VALU_DEP_3) | instskip(SKIP_1) | instid1(VALU_DEP_4)
	v_add_co_u32 v4, vcc_lo, v13, v7
	s_wait_alu 0xfffd
	v_add_co_ci_u32_e32 v7, vcc_lo, 0, v8, vcc_lo
	s_delay_alu instid0(VALU_DEP_2) | instskip(SKIP_1) | instid1(VALU_DEP_2)
	v_add_co_u32 v4, vcc_lo, v4, v9
	s_wait_alu 0xfffd
	v_add_co_ci_u32_e32 v4, vcc_lo, v7, v10, vcc_lo
	s_wait_alu 0xfffd
	v_add_co_ci_u32_e32 v7, vcc_lo, 0, v12, vcc_lo
	s_delay_alu instid0(VALU_DEP_2) | instskip(SKIP_1) | instid1(VALU_DEP_2)
	v_add_co_u32 v4, vcc_lo, v4, v11
	s_wait_alu 0xfffd
	v_add_co_ci_u32_e32 v9, vcc_lo, 0, v7, vcc_lo
	s_delay_alu instid0(VALU_DEP_2) | instskip(SKIP_1) | instid1(VALU_DEP_3)
	v_mul_lo_u32 v10, s19, v4
	v_mad_co_u64_u32 v[7:8], null, s18, v4, 0
	v_mul_lo_u32 v11, s18, v9
	s_delay_alu instid0(VALU_DEP_2) | instskip(NEXT) | instid1(VALU_DEP_2)
	v_sub_co_u32 v7, vcc_lo, v5, v7
	v_add3_u32 v8, v8, v11, v10
	s_delay_alu instid0(VALU_DEP_1) | instskip(SKIP_1) | instid1(VALU_DEP_1)
	v_sub_nc_u32_e32 v10, v6, v8
	s_wait_alu 0xfffd
	v_subrev_co_ci_u32_e64 v10, s2, s19, v10, vcc_lo
	v_add_co_u32 v11, s2, v4, 2
	s_wait_alu 0xf1ff
	v_add_co_ci_u32_e64 v12, s2, 0, v9, s2
	v_sub_co_u32 v13, s2, v7, s18
	v_sub_co_ci_u32_e32 v8, vcc_lo, v6, v8, vcc_lo
	s_wait_alu 0xf1ff
	v_subrev_co_ci_u32_e64 v10, s2, 0, v10, s2
	s_delay_alu instid0(VALU_DEP_3) | instskip(NEXT) | instid1(VALU_DEP_3)
	v_cmp_le_u32_e32 vcc_lo, s18, v13
	v_cmp_eq_u32_e64 s2, s19, v8
	s_wait_alu 0xfffd
	v_cndmask_b32_e64 v13, 0, -1, vcc_lo
	v_cmp_le_u32_e32 vcc_lo, s19, v10
	s_wait_alu 0xfffd
	v_cndmask_b32_e64 v14, 0, -1, vcc_lo
	v_cmp_le_u32_e32 vcc_lo, s18, v7
	;; [unrolled: 3-line block ×3, first 2 shown]
	s_wait_alu 0xfffd
	v_cndmask_b32_e64 v15, 0, -1, vcc_lo
	v_cmp_eq_u32_e32 vcc_lo, s19, v10
	s_wait_alu 0xf1ff
	s_delay_alu instid0(VALU_DEP_2)
	v_cndmask_b32_e64 v7, v15, v7, s2
	s_wait_alu 0xfffd
	v_cndmask_b32_e32 v10, v14, v13, vcc_lo
	v_add_co_u32 v13, vcc_lo, v4, 1
	s_wait_alu 0xfffd
	v_add_co_ci_u32_e32 v14, vcc_lo, 0, v9, vcc_lo
	s_delay_alu instid0(VALU_DEP_3) | instskip(SKIP_2) | instid1(VALU_DEP_3)
	v_cmp_ne_u32_e32 vcc_lo, 0, v10
	s_wait_alu 0xfffd
	v_cndmask_b32_e32 v10, v13, v11, vcc_lo
	v_cndmask_b32_e32 v8, v14, v12, vcc_lo
	v_cmp_ne_u32_e32 vcc_lo, 0, v7
	s_wait_alu 0xfffd
	s_delay_alu instid0(VALU_DEP_2)
	v_dual_cndmask_b32 v7, v4, v10 :: v_dual_cndmask_b32 v8, v9, v8
.LBB0_4:                                ;   in Loop: Header=BB0_2 Depth=1
	s_wait_alu 0xfffe
	s_and_not1_saveexec_b32 s2, s20
	s_cbranch_execz .LBB0_6
; %bb.5:                                ;   in Loop: Header=BB0_2 Depth=1
	v_cvt_f32_u32_e32 v4, s18
	s_sub_co_i32 s20, 0, s18
	s_delay_alu instid0(VALU_DEP_1) | instskip(NEXT) | instid1(TRANS32_DEP_1)
	v_rcp_iflag_f32_e32 v4, v4
	v_mul_f32_e32 v4, 0x4f7ffffe, v4
	s_delay_alu instid0(VALU_DEP_1) | instskip(SKIP_1) | instid1(VALU_DEP_1)
	v_cvt_u32_f32_e32 v4, v4
	s_wait_alu 0xfffe
	v_mul_lo_u32 v7, s20, v4
	s_delay_alu instid0(VALU_DEP_1) | instskip(NEXT) | instid1(VALU_DEP_1)
	v_mul_hi_u32 v7, v4, v7
	v_add_nc_u32_e32 v4, v4, v7
	s_delay_alu instid0(VALU_DEP_1) | instskip(NEXT) | instid1(VALU_DEP_1)
	v_mul_hi_u32 v4, v5, v4
	v_mul_lo_u32 v7, v4, s18
	v_add_nc_u32_e32 v8, 1, v4
	s_delay_alu instid0(VALU_DEP_2) | instskip(NEXT) | instid1(VALU_DEP_1)
	v_sub_nc_u32_e32 v7, v5, v7
	v_subrev_nc_u32_e32 v9, s18, v7
	v_cmp_le_u32_e32 vcc_lo, s18, v7
	s_wait_alu 0xfffd
	s_delay_alu instid0(VALU_DEP_2) | instskip(NEXT) | instid1(VALU_DEP_1)
	v_dual_cndmask_b32 v7, v7, v9 :: v_dual_cndmask_b32 v4, v4, v8
	v_cmp_le_u32_e32 vcc_lo, s18, v7
	s_delay_alu instid0(VALU_DEP_2) | instskip(SKIP_1) | instid1(VALU_DEP_1)
	v_add_nc_u32_e32 v8, 1, v4
	s_wait_alu 0xfffd
	v_dual_cndmask_b32 v7, v4, v8 :: v_dual_mov_b32 v8, v3
.LBB0_6:                                ;   in Loop: Header=BB0_2 Depth=1
	s_wait_alu 0xfffe
	s_or_b32 exec_lo, exec_lo, s2
	s_load_b64 s[20:21], s[12:13], 0x0
	s_delay_alu instid0(VALU_DEP_1)
	v_mul_lo_u32 v4, v8, s18
	v_mul_lo_u32 v11, v7, s19
	v_mad_co_u64_u32 v[9:10], null, v7, s18, 0
	s_add_nc_u64 s[14:15], s[14:15], 1
	s_add_nc_u64 s[12:13], s[12:13], 8
	s_wait_alu 0xfffe
	v_cmp_ge_u64_e64 s2, s[14:15], s[6:7]
	s_add_nc_u64 s[16:17], s[16:17], 8
	s_delay_alu instid0(VALU_DEP_2) | instskip(NEXT) | instid1(VALU_DEP_3)
	v_add3_u32 v4, v10, v11, v4
	v_sub_co_u32 v5, vcc_lo, v5, v9
	s_wait_alu 0xfffd
	s_delay_alu instid0(VALU_DEP_2) | instskip(SKIP_3) | instid1(VALU_DEP_2)
	v_sub_co_ci_u32_e32 v4, vcc_lo, v6, v4, vcc_lo
	s_and_b32 vcc_lo, exec_lo, s2
	s_wait_kmcnt 0x0
	v_mul_lo_u32 v6, s21, v5
	v_mul_lo_u32 v4, s20, v4
	v_mad_co_u64_u32 v[1:2], null, s20, v5, v[1:2]
	s_delay_alu instid0(VALU_DEP_1)
	v_add3_u32 v2, v6, v2, v4
	s_wait_alu 0xfffe
	s_cbranch_vccnz .LBB0_9
; %bb.7:                                ;   in Loop: Header=BB0_2 Depth=1
	v_dual_mov_b32 v5, v7 :: v_dual_mov_b32 v6, v8
	s_branch .LBB0_2
.LBB0_8:
	v_dual_mov_b32 v8, v6 :: v_dual_mov_b32 v7, v5
.LBB0_9:
	s_lshl_b64 s[2:3], s[6:7], 3
	v_mul_hi_u32 v5, 0x1681682, v0
	s_wait_alu 0xfffe
	s_add_nc_u64 s[2:3], s[10:11], s[2:3]
	s_load_b64 s[2:3], s[2:3], 0x0
	s_load_b64 s[0:1], s[0:1], 0x20
	s_wait_kmcnt 0x0
	v_mul_lo_u32 v3, s2, v8
	v_mul_lo_u32 v4, s3, v7
	v_mad_co_u64_u32 v[1:2], null, s2, v7, v[1:2]
	v_cmp_gt_u64_e32 vcc_lo, s[0:1], v[7:8]
	s_delay_alu instid0(VALU_DEP_2) | instskip(SKIP_1) | instid1(VALU_DEP_2)
	v_add3_u32 v2, v4, v2, v3
	v_mul_u32_u24_e32 v3, 0xb6, v5
	v_lshlrev_b64_e32 v[62:63], 4, v[1:2]
	s_delay_alu instid0(VALU_DEP_2)
	v_sub_nc_u32_e32 v60, v0, v3
	s_and_saveexec_b32 s1, vcc_lo
	s_cbranch_execz .LBB0_13
; %bb.10:
	v_mov_b32_e32 v61, 0
	s_delay_alu instid0(VALU_DEP_3) | instskip(SKIP_2) | instid1(VALU_DEP_3)
	v_add_co_u32 v0, s0, s8, v62
	s_wait_alu 0xf1ff
	v_add_co_ci_u32_e64 v1, s0, s9, v63, s0
	v_lshlrev_b64_e32 v[2:3], 4, v[60:61]
	v_lshl_add_u32 v30, v60, 4, 0
	s_mov_b32 s2, exec_lo
	s_delay_alu instid0(VALU_DEP_2) | instskip(SKIP_1) | instid1(VALU_DEP_3)
	v_add_co_u32 v26, s0, v0, v2
	s_wait_alu 0xf1ff
	v_add_co_ci_u32_e64 v27, s0, v1, v3, s0
	s_clause 0x6
	global_load_b128 v[2:5], v[26:27], off
	global_load_b128 v[6:9], v[26:27], off offset:2912
	global_load_b128 v[10:13], v[26:27], off offset:5824
	;; [unrolled: 1-line block ×6, first 2 shown]
	s_wait_loadcnt 0x6
	ds_store_b128 v30, v[2:5]
	s_wait_loadcnt 0x5
	ds_store_b128 v30, v[6:9] offset:2912
	s_wait_loadcnt 0x4
	ds_store_b128 v30, v[10:13] offset:5824
	;; [unrolled: 2-line block ×6, first 2 shown]
	v_cmpx_eq_u32_e32 0xb5, v60
	s_cbranch_execz .LBB0_12
; %bb.11:
	global_load_b128 v[0:3], v[0:1], off offset:20384
	v_mov_b32_e32 v60, 0xb5
	s_wait_loadcnt 0x0
	ds_store_b128 v61, v[0:3] offset:20384
.LBB0_12:
	s_wait_alu 0xfffe
	s_or_b32 exec_lo, exec_lo, s2
.LBB0_13:
	s_wait_alu 0xfffe
	s_or_b32 exec_lo, exec_lo, s1
	v_lshlrev_b32_e32 v0, 4, v60
	global_wb scope:SCOPE_SE
	s_wait_dscnt 0x0
	s_barrier_signal -1
	s_barrier_wait -1
	global_inv scope:SCOPE_SE
	v_add_nc_u32_e32 v80, 0, v0
	v_sub_nc_u32_e32 v6, 0, v0
	s_mov_b32 s1, exec_lo
	ds_load_b64 v[2:3], v80
	ds_load_b64 v[4:5], v6 offset:20384
	s_wait_dscnt 0x0
	v_add_f64_e32 v[0:1], v[2:3], v[4:5]
	v_add_f64_e64 v[2:3], v[2:3], -v[4:5]
                                        ; implicit-def: $vgpr4_vgpr5
	v_cmpx_ne_u32_e32 0, v60
	s_wait_alu 0xfffe
	s_xor_b32 s1, exec_lo, s1
	s_cbranch_execz .LBB0_15
; %bb.14:
	v_mov_b32_e32 v61, 0
	s_delay_alu instid0(VALU_DEP_1) | instskip(NEXT) | instid1(VALU_DEP_1)
	v_lshlrev_b64_e32 v[4:5], 4, v[60:61]
	v_add_co_u32 v4, s0, s4, v4
	s_wait_alu 0xf1ff
	s_delay_alu instid0(VALU_DEP_2)
	v_add_co_ci_u32_e64 v5, s0, s5, v5, s0
	global_load_b128 v[7:10], v[4:5], off offset:20352
	ds_load_b64 v[4:5], v6 offset:20392
	ds_load_b64 v[11:12], v80 offset:8
	s_wait_dscnt 0x0
	v_add_f64_e32 v[13:14], v[4:5], v[11:12]
	v_add_f64_e64 v[4:5], v[11:12], -v[4:5]
	s_wait_loadcnt 0x0
	v_fma_f64 v[11:12], v[2:3], v[9:10], v[0:1]
	s_delay_alu instid0(VALU_DEP_2) | instskip(SKIP_2) | instid1(VALU_DEP_4)
	v_fma_f64 v[15:16], v[13:14], v[9:10], v[4:5]
	v_fma_f64 v[0:1], -v[2:3], v[9:10], v[0:1]
	v_fma_f64 v[4:5], v[13:14], v[9:10], -v[4:5]
	v_fma_f64 v[9:10], -v[13:14], v[7:8], v[11:12]
	s_delay_alu instid0(VALU_DEP_4) | instskip(NEXT) | instid1(VALU_DEP_4)
	v_fma_f64 v[11:12], v[2:3], v[7:8], v[15:16]
	v_fma_f64 v[0:1], v[13:14], v[7:8], v[0:1]
	s_delay_alu instid0(VALU_DEP_4)
	v_fma_f64 v[2:3], v[2:3], v[7:8], v[4:5]
	v_dual_mov_b32 v4, v60 :: v_dual_mov_b32 v5, v61
	ds_store_b128 v80, v[9:12]
	ds_store_b128 v6, v[0:3] offset:20384
                                        ; implicit-def: $vgpr0_vgpr1
.LBB0_15:
	s_wait_alu 0xfffe
	s_and_not1_saveexec_b32 s0, s1
	s_cbranch_execz .LBB0_17
; %bb.16:
	v_dual_mov_b32 v7, 0 :: v_dual_mov_b32 v4, 0
	ds_store_b128 v80, v[0:3]
	v_mov_b32_e32 v5, 0
	ds_load_b128 v[0:3], v7 offset:10192
	s_wait_dscnt 0x0
	v_add_f64_e32 v[0:1], v[0:1], v[0:1]
	v_mul_f64_e32 v[2:3], -2.0, v[2:3]
	ds_store_b128 v7, v[0:3] offset:10192
.LBB0_17:
	s_wait_alu 0xfffe
	s_or_b32 exec_lo, exec_lo, s0
	v_lshlrev_b64_e32 v[0:1], 4, v[4:5]
	s_add_nc_u64 s[0:1], s[4:5], 0x4f80
	s_wait_alu 0xfffe
	s_delay_alu instid0(VALU_DEP_1) | instskip(SKIP_1) | instid1(VALU_DEP_2)
	v_add_co_u32 v0, s0, s0, v0
	s_wait_alu 0xf1ff
	v_add_co_ci_u32_e64 v1, s0, s1, v1, s0
	v_cmp_gt_u32_e64 s0, 0x5b, v60
	s_clause 0x1
	global_load_b128 v[2:5], v[0:1], off offset:2912
	global_load_b128 v[7:10], v[0:1], off offset:5824
	ds_load_b128 v[11:14], v80 offset:2912
	ds_load_b128 v[15:18], v6 offset:17472
	s_wait_dscnt 0x0
	v_add_f64_e32 v[19:20], v[11:12], v[15:16]
	v_add_f64_e32 v[21:22], v[17:18], v[13:14]
	v_add_f64_e64 v[23:24], v[11:12], -v[15:16]
	v_add_f64_e64 v[11:12], v[13:14], -v[17:18]
	s_wait_loadcnt 0x1
	s_delay_alu instid0(VALU_DEP_2) | instskip(NEXT) | instid1(VALU_DEP_2)
	v_fma_f64 v[13:14], v[23:24], v[4:5], v[19:20]
	v_fma_f64 v[15:16], v[21:22], v[4:5], v[11:12]
	v_fma_f64 v[17:18], -v[23:24], v[4:5], v[19:20]
	v_fma_f64 v[4:5], v[21:22], v[4:5], -v[11:12]
	s_delay_alu instid0(VALU_DEP_4) | instskip(NEXT) | instid1(VALU_DEP_4)
	v_fma_f64 v[11:12], -v[21:22], v[2:3], v[13:14]
	v_fma_f64 v[13:14], v[23:24], v[2:3], v[15:16]
	s_delay_alu instid0(VALU_DEP_4) | instskip(NEXT) | instid1(VALU_DEP_4)
	v_fma_f64 v[15:16], v[21:22], v[2:3], v[17:18]
	v_fma_f64 v[17:18], v[23:24], v[2:3], v[4:5]
	ds_store_b128 v80, v[11:14] offset:2912
	ds_store_b128 v6, v[15:18] offset:17472
	ds_load_b128 v[2:5], v80 offset:5824
	ds_load_b128 v[11:14], v6 offset:14560
	s_wait_dscnt 0x0
	v_add_f64_e32 v[15:16], v[2:3], v[11:12]
	v_add_f64_e32 v[17:18], v[13:14], v[4:5]
	v_add_f64_e64 v[11:12], v[2:3], -v[11:12]
	v_add_f64_e64 v[2:3], v[4:5], -v[13:14]
	s_wait_loadcnt 0x0
	s_delay_alu instid0(VALU_DEP_2) | instskip(NEXT) | instid1(VALU_DEP_2)
	v_fma_f64 v[4:5], v[11:12], v[9:10], v[15:16]
	v_fma_f64 v[13:14], v[17:18], v[9:10], v[2:3]
	v_fma_f64 v[15:16], -v[11:12], v[9:10], v[15:16]
	v_fma_f64 v[19:20], v[17:18], v[9:10], -v[2:3]
	s_delay_alu instid0(VALU_DEP_4) | instskip(NEXT) | instid1(VALU_DEP_4)
	v_fma_f64 v[2:3], -v[17:18], v[7:8], v[4:5]
	v_fma_f64 v[4:5], v[11:12], v[7:8], v[13:14]
	s_delay_alu instid0(VALU_DEP_4) | instskip(NEXT) | instid1(VALU_DEP_4)
	v_fma_f64 v[9:10], v[17:18], v[7:8], v[15:16]
	v_fma_f64 v[11:12], v[11:12], v[7:8], v[19:20]
	ds_store_b128 v80, v[2:5] offset:5824
	ds_store_b128 v6, v[9:12] offset:14560
	s_and_saveexec_b32 s1, s0
	s_cbranch_execz .LBB0_19
; %bb.18:
	global_load_b128 v[0:3], v[0:1], off offset:8736
	ds_load_b128 v[7:10], v80 offset:8736
	ds_load_b128 v[11:14], v6 offset:11648
	s_wait_dscnt 0x0
	v_add_f64_e32 v[4:5], v[7:8], v[11:12]
	v_add_f64_e32 v[15:16], v[13:14], v[9:10]
	v_add_f64_e64 v[11:12], v[7:8], -v[11:12]
	v_add_f64_e64 v[7:8], v[9:10], -v[13:14]
	s_wait_loadcnt 0x0
	s_delay_alu instid0(VALU_DEP_2) | instskip(NEXT) | instid1(VALU_DEP_2)
	v_fma_f64 v[9:10], v[11:12], v[2:3], v[4:5]
	v_fma_f64 v[13:14], v[15:16], v[2:3], v[7:8]
	v_fma_f64 v[17:18], -v[11:12], v[2:3], v[4:5]
	v_fma_f64 v[19:20], v[15:16], v[2:3], -v[7:8]
	s_delay_alu instid0(VALU_DEP_4) | instskip(NEXT) | instid1(VALU_DEP_4)
	v_fma_f64 v[2:3], -v[15:16], v[0:1], v[9:10]
	v_fma_f64 v[4:5], v[11:12], v[0:1], v[13:14]
	s_delay_alu instid0(VALU_DEP_4) | instskip(NEXT) | instid1(VALU_DEP_4)
	v_fma_f64 v[7:8], v[15:16], v[0:1], v[17:18]
	v_fma_f64 v[9:10], v[11:12], v[0:1], v[19:20]
	ds_store_b128 v80, v[2:5] offset:8736
	ds_store_b128 v6, v[7:10] offset:11648
.LBB0_19:
	s_wait_alu 0xfffe
	s_or_b32 exec_lo, exec_lo, s1
	global_wb scope:SCOPE_SE
	s_wait_dscnt 0x0
	s_barrier_signal -1
	s_barrier_wait -1
	global_inv scope:SCOPE_SE
	global_wb scope:SCOPE_SE
	s_barrier_signal -1
	s_barrier_wait -1
	global_inv scope:SCOPE_SE
	ds_load_b128 v[0:3], v80 offset:10192
	ds_load_b128 v[4:7], v80
	ds_load_b128 v[12:15], v80 offset:2912
	ds_load_b128 v[8:11], v80 offset:13104
	;; [unrolled: 1-line block ×6, first 2 shown]
	global_wb scope:SCOPE_SE
	s_wait_dscnt 0x0
	s_barrier_signal -1
	s_barrier_wait -1
	global_inv scope:SCOPE_SE
	v_add_f64_e64 v[16:17], v[4:5], -v[0:1]
	v_add_f64_e64 v[18:19], v[6:7], -v[2:3]
	;; [unrolled: 1-line block ×8, first 2 shown]
	v_lshl_add_u32 v21, v60, 4, v80
	v_lshl_add_u32 v20, v60, 5, 0
	v_fma_f64 v[0:1], v[4:5], 2.0, -v[16:17]
	v_fma_f64 v[2:3], v[6:7], 2.0, -v[18:19]
	;; [unrolled: 1-line block ×8, first 2 shown]
	ds_store_b128 v21, v[0:3]
	ds_store_b128 v21, v[16:19] offset:16
	ds_store_b128 v20, v[4:7] offset:5824
	;; [unrolled: 1-line block ×5, first 2 shown]
	s_and_saveexec_b32 s1, s0
	s_cbranch_execz .LBB0_21
; %bb.20:
	ds_store_b128 v20, v[12:15] offset:17472
	ds_store_b128 v20, v[8:11] offset:17488
.LBB0_21:
	s_wait_alu 0xfffe
	s_or_b32 exec_lo, exec_lo, s1
	v_cmp_gt_u32_e64 s0, 0x62, v60
	global_wb scope:SCOPE_SE
	s_wait_dscnt 0x0
	s_barrier_signal -1
	s_barrier_wait -1
	global_inv scope:SCOPE_SE
                                        ; implicit-def: $vgpr50_vgpr51
                                        ; implicit-def: $vgpr22_vgpr23
                                        ; implicit-def: $vgpr46_vgpr47
                                        ; implicit-def: $vgpr42_vgpr43
                                        ; implicit-def: $vgpr38_vgpr39
	s_and_saveexec_b32 s1, s0
	s_cbranch_execz .LBB0_23
; %bb.22:
	ds_load_b128 v[0:3], v80
	ds_load_b128 v[16:19], v80 offset:1568
	ds_load_b128 v[4:7], v80 offset:3136
	ds_load_b128 v[24:27], v80 offset:4704
	ds_load_b128 v[28:31], v80 offset:6272
	ds_load_b128 v[32:35], v80 offset:7840
	ds_load_b128 v[12:15], v80 offset:9408
	ds_load_b128 v[8:11], v80 offset:10976
	ds_load_b128 v[36:39], v80 offset:12544
	ds_load_b128 v[40:43], v80 offset:14112
	ds_load_b128 v[44:47], v80 offset:15680
	ds_load_b128 v[20:23], v80 offset:17248
	ds_load_b128 v[48:51], v80 offset:18816
.LBB0_23:
	s_wait_alu 0xfffe
	s_or_b32 exec_lo, exec_lo, s1
	global_wb scope:SCOPE_SE
	s_wait_dscnt 0x0
	s_barrier_signal -1
	s_barrier_wait -1
	global_inv scope:SCOPE_SE
	s_and_saveexec_b32 s33, s0
	s_cbranch_execz .LBB0_25
; %bb.24:
	v_and_b32_e32 v61, 1, v60
	s_mov_b32 s10, 0xebaa3ed8
	s_mov_b32 s6, 0xb2365da1
	;; [unrolled: 1-line block ×4, first 2 shown]
	v_mul_u32_u24_e32 v52, 12, v61
	s_mov_b32 s0, 0x93053d00
	s_mov_b32 s36, 0xe00740e9
	;; [unrolled: 1-line block ×4, first 2 shown]
	v_lshlrev_b32_e32 v66, 4, v52
	s_mov_b32 s19, 0x3fe22d96
	s_mov_b32 s3, 0xbfe7f3cc
	;; [unrolled: 1-line block ×4, first 2 shown]
	s_clause 0x1
	global_load_b128 v[56:59], v66, s[4:5]
	global_load_b128 v[52:55], v66, s[4:5] offset:16
	s_mov_b32 s38, 0x4267c47c
	s_mov_b32 s39, 0xbfddbe06
	;; [unrolled: 1-line block ×19, first 2 shown]
	s_wait_alu 0xfffe
	s_mov_b32 s20, s26
	s_mov_b32 s30, s12
	;; [unrolled: 1-line block ×5, first 2 shown]
	s_wait_loadcnt 0x1
	v_mul_f64_e32 v[64:65], v[16:17], v[58:59]
	s_delay_alu instid0(VALU_DEP_1) | instskip(SKIP_1) | instid1(VALU_DEP_1)
	v_fma_f64 v[64:65], v[18:19], v[56:57], v[64:65]
	v_mul_f64_e32 v[18:19], v[18:19], v[58:59]
	v_fma_f64 v[81:82], v[16:17], v[56:57], -v[18:19]
	s_clause 0x1
	global_load_b128 v[56:59], v66, s[4:5] offset:176
	global_load_b128 v[67:70], v66, s[4:5] offset:160
	s_wait_loadcnt 0x1
	v_mul_f64_e32 v[16:17], v[48:49], v[58:59]
	v_mul_f64_e32 v[18:19], v[50:51], v[58:59]
	s_delay_alu instid0(VALU_DEP_2) | instskip(NEXT) | instid1(VALU_DEP_2)
	v_fma_f64 v[16:17], v[50:51], v[56:57], v[16:17]
	v_fma_f64 v[18:19], v[48:49], v[56:57], -v[18:19]
	s_clause 0x1
	global_load_b128 v[56:59], v66, s[4:5] offset:64
	global_load_b128 v[71:74], v66, s[4:5] offset:80
	v_add_f64_e32 v[93:94], v[81:82], v[18:19]
	s_wait_loadcnt 0x1
	v_mul_f64_e32 v[48:49], v[32:33], v[58:59]
	s_delay_alu instid0(VALU_DEP_1) | instskip(SKIP_1) | instid1(VALU_DEP_1)
	v_fma_f64 v[48:49], v[34:35], v[56:57], v[48:49]
	v_mul_f64_e32 v[34:35], v[34:35], v[58:59]
	v_fma_f64 v[32:33], v[32:33], v[56:57], -v[34:35]
	global_load_b128 v[56:59], v66, s[4:5] offset:32
	s_wait_loadcnt 0x0
	v_mul_f64_e32 v[34:35], v[24:25], v[58:59]
	s_delay_alu instid0(VALU_DEP_1) | instskip(SKIP_1) | instid1(VALU_DEP_1)
	v_fma_f64 v[34:35], v[26:27], v[56:57], v[34:35]
	v_mul_f64_e32 v[26:27], v[26:27], v[58:59]
	v_fma_f64 v[50:51], v[24:25], v[56:57], -v[26:27]
	s_clause 0x1
	global_load_b128 v[56:59], v66, s[4:5] offset:144
	global_load_b128 v[75:78], v66, s[4:5] offset:128
	s_wait_loadcnt 0x1
	v_mul_f64_e32 v[24:25], v[44:45], v[58:59]
	v_mul_f64_e32 v[26:27], v[46:47], v[58:59]
	s_delay_alu instid0(VALU_DEP_2) | instskip(NEXT) | instid1(VALU_DEP_2)
	v_fma_f64 v[24:25], v[46:47], v[56:57], v[24:25]
	v_fma_f64 v[26:27], v[44:45], v[56:57], -v[26:27]
	global_load_b128 v[56:59], v66, s[4:5] offset:48
	v_add_f64_e32 v[121:122], v[34:35], v[24:25]
	v_add_f64_e64 v[123:124], v[34:35], -v[24:25]
	v_add_f64_e32 v[125:126], v[50:51], v[26:27]
	s_delay_alu instid0(VALU_DEP_3) | instskip(SKIP_1) | instid1(VALU_DEP_3)
	v_mul_f64_e32 v[167:168], s[0:1], v[121:122]
	s_wait_alu 0xfffe
	v_mul_f64_e32 v[169:170], s[24:25], v[123:124]
	s_wait_loadcnt 0x0
	v_mul_f64_e32 v[44:45], v[28:29], v[58:59]
	s_delay_alu instid0(VALU_DEP_1) | instskip(SKIP_1) | instid1(VALU_DEP_1)
	v_fma_f64 v[44:45], v[30:31], v[56:57], v[44:45]
	v_mul_f64_e32 v[30:31], v[30:31], v[58:59]
	v_fma_f64 v[46:47], v[28:29], v[56:57], -v[30:31]
	v_mul_f64_e32 v[28:29], v[40:41], v[77:78]
	v_mul_f64_e32 v[30:31], v[42:43], v[77:78]
	s_delay_alu instid0(VALU_DEP_2) | instskip(NEXT) | instid1(VALU_DEP_2)
	v_fma_f64 v[28:29], v[42:43], v[75:76], v[28:29]
	v_fma_f64 v[30:31], v[40:41], v[75:76], -v[30:31]
	s_clause 0x1
	global_load_b128 v[56:59], v66, s[4:5] offset:112
	global_load_b128 v[75:78], v66, s[4:5] offset:96
	v_add_f64_e32 v[127:128], v[44:45], v[28:29]
	v_add_f64_e64 v[129:130], v[46:47], -v[30:31]
	v_add_f64_e32 v[133:134], v[46:47], v[30:31]
	s_delay_alu instid0(VALU_DEP_3) | instskip(SKIP_2) | instid1(VALU_DEP_1)
	v_mul_f64_e32 v[171:172], s[2:3], v[127:128]
	s_wait_loadcnt 0x1
	v_mul_f64_e32 v[40:41], v[36:37], v[58:59]
	v_fma_f64 v[40:41], v[38:39], v[56:57], v[40:41]
	v_mul_f64_e32 v[38:39], v[38:39], v[58:59]
	s_delay_alu instid0(VALU_DEP_1) | instskip(SKIP_1) | instid1(VALU_DEP_2)
	v_fma_f64 v[36:37], v[36:37], v[56:57], -v[38:39]
	v_mul_f64_e32 v[38:39], v[12:13], v[73:74]
	v_add_f64_e64 v[139:140], v[32:33], -v[36:37]
	s_delay_alu instid0(VALU_DEP_2) | instskip(SKIP_2) | instid1(VALU_DEP_2)
	v_fma_f64 v[38:39], v[14:15], v[71:72], v[38:39]
	v_mul_f64_e32 v[14:15], v[14:15], v[73:74]
	v_add_f64_e32 v[145:146], v[32:33], v[36:37]
	v_fma_f64 v[12:13], v[12:13], v[71:72], -v[14:15]
	s_wait_loadcnt 0x0
	v_mul_f64_e32 v[14:15], v[8:9], v[77:78]
	s_delay_alu instid0(VALU_DEP_1) | instskip(SKIP_1) | instid1(VALU_DEP_1)
	v_fma_f64 v[14:15], v[10:11], v[75:76], v[14:15]
	v_mul_f64_e32 v[10:11], v[10:11], v[77:78]
	v_fma_f64 v[8:9], v[8:9], v[75:76], -v[10:11]
	v_mul_f64_e32 v[10:11], v[4:5], v[54:55]
	s_delay_alu instid0(VALU_DEP_2) | instskip(NEXT) | instid1(VALU_DEP_2)
	v_add_f64_e64 v[151:152], v[12:13], -v[8:9]
	v_fma_f64 v[10:11], v[6:7], v[52:53], v[10:11]
	v_mul_f64_e32 v[6:7], v[6:7], v[54:55]
	v_add_f64_e32 v[157:158], v[12:13], v[8:9]
	s_delay_alu instid0(VALU_DEP_2) | instskip(SKIP_2) | instid1(VALU_DEP_2)
	v_fma_f64 v[42:43], v[4:5], v[52:53], -v[6:7]
	v_mul_f64_e32 v[6:7], v[22:23], v[69:70]
	v_mul_f64_e32 v[4:5], v[20:21], v[69:70]
	v_fma_f64 v[6:7], v[20:21], v[67:68], -v[6:7]
	v_add_f64_e32 v[20:21], v[64:65], v[16:17]
	s_delay_alu instid0(VALU_DEP_3) | instskip(SKIP_1) | instid1(VALU_DEP_3)
	v_fma_f64 v[4:5], v[22:23], v[67:68], v[4:5]
	v_add_f64_e64 v[66:67], v[81:82], -v[18:19]
	v_mul_f64_e32 v[22:23], s[0:1], v[20:21]
	v_mul_f64_e32 v[52:53], s[2:3], v[20:21]
	;; [unrolled: 1-line block ×6, first 2 shown]
	v_fma_f64 v[68:69], v[66:67], s[14:15], v[22:23]
	v_fma_f64 v[70:71], v[66:67], s[24:25], v[22:23]
	v_fma_f64 v[72:73], v[66:67], s[16:17], v[52:53]
	v_fma_f64 v[52:53], v[66:67], s[28:29], v[52:53]
	v_fma_f64 v[74:75], v[66:67], s[12:13], v[54:55]
	v_fma_f64 v[87:88], v[66:67], s[40:41], v[20:21]
	v_fma_f64 v[89:90], v[66:67], s[38:39], v[20:21]
	v_add_f64_e64 v[20:21], v[64:65], -v[16:17]
	v_fma_f64 v[54:55], v[66:67], s[30:31], v[54:55]
	v_fma_f64 v[83:84], v[66:67], s[20:21], v[56:57]
	;; [unrolled: 1-line block ×5, first 2 shown]
	v_add_f64_e32 v[68:69], v[2:3], v[68:69]
	v_add_f64_e32 v[111:112], v[2:3], v[72:73]
	;; [unrolled: 1-line block ×5, first 2 shown]
	v_mul_f64_e32 v[78:79], s[26:27], v[20:21]
	v_mul_f64_e32 v[22:23], s[24:25], v[20:21]
	v_mul_f64_e32 v[66:67], s[28:29], v[20:21]
	v_mul_f64_e32 v[76:77], s[30:31], v[20:21]
	v_mul_f64_e32 v[91:92], s[34:35], v[20:21]
	v_mul_f64_e32 v[20:21], s[38:39], v[20:21]
	v_add_f64_e32 v[74:75], v[2:3], v[83:84]
	v_add_f64_e32 v[119:120], v[2:3], v[56:57]
	;; [unrolled: 1-line block ×3, first 2 shown]
	v_mul_f64_e32 v[89:90], s[2:3], v[121:122]
	v_fma_f64 v[103:104], v[93:94], s[10:11], v[78:79]
	v_fma_f64 v[95:96], v[93:94], s[0:1], v[22:23]
	v_fma_f64 v[97:98], v[93:94], s[0:1], -v[22:23]
	v_fma_f64 v[99:100], v[93:94], s[2:3], v[66:67]
	v_fma_f64 v[66:67], v[93:94], s[2:3], -v[66:67]
	v_fma_f64 v[101:102], v[93:94], s[6:7], v[76:77]
	v_fma_f64 v[76:77], v[93:94], s[6:7], -v[76:77]
	v_fma_f64 v[105:106], v[93:94], s[10:11], -v[78:79]
	v_fma_f64 v[107:108], v[93:94], s[18:19], v[91:92]
	v_fma_f64 v[91:92], v[93:94], s[18:19], -v[91:92]
	v_fma_f64 v[109:110], v[93:94], s[36:37], v[20:21]
	v_fma_f64 v[93:94], v[93:94], s[36:37], -v[20:21]
	v_add_f64_e32 v[20:21], v[2:3], v[64:65]
	v_add_f64_e32 v[22:23], v[0:1], v[81:82]
	;; [unrolled: 1-line block ×19, first 2 shown]
	v_add_f64_e64 v[0:1], v[42:43], -v[6:7]
	v_add_f64_e64 v[109:110], v[10:11], -v[4:5]
	v_mul_f64_e32 v[85:86], s[36:37], v[58:59]
	v_mul_f64_e32 v[163:164], s[6:7], v[58:59]
	;; [unrolled: 1-line block ×3, first 2 shown]
	s_delay_alu instid0(VALU_DEP_4) | instskip(SKIP_3) | instid1(VALU_DEP_2)
	v_mul_f64_e32 v[87:88], s[40:41], v[109:110]
	v_mul_f64_e32 v[165:166], s[30:31], v[109:110]
	v_fma_f64 v[70:71], v[0:1], s[38:39], v[85:86]
	v_fma_f64 v[85:86], v[0:1], s[40:41], v[85:86]
	v_add_f64_e32 v[83:84], v[70:71], v[68:69]
	v_add_f64_e32 v[68:69], v[42:43], v[6:7]
	s_delay_alu instid0(VALU_DEP_3) | instskip(SKIP_1) | instid1(VALU_DEP_3)
	v_add_f64_e32 v[85:86], v[85:86], v[95:96]
	v_mul_f64_e32 v[95:96], s[20:21], v[109:110]
	v_fma_f64 v[70:71], v[68:69], s[36:37], v[87:88]
	v_fma_f64 v[87:88], v[68:69], s[36:37], -v[87:88]
	s_delay_alu instid0(VALU_DEP_2) | instskip(SKIP_1) | instid1(VALU_DEP_3)
	v_add_f64_e32 v[81:82], v[70:71], v[81:82]
	v_add_f64_e64 v[70:71], v[50:51], -v[26:27]
	v_add_f64_e32 v[87:88], v[87:88], v[97:98]
	v_mul_f64_e32 v[97:98], s[18:19], v[121:122]
	s_delay_alu instid0(VALU_DEP_3) | instskip(SKIP_1) | instid1(VALU_DEP_2)
	v_fma_f64 v[91:92], v[70:71], s[16:17], v[89:90]
	v_fma_f64 v[89:90], v[70:71], s[28:29], v[89:90]
	v_add_f64_e32 v[83:84], v[91:92], v[83:84]
	v_mul_f64_e32 v[91:92], s[28:29], v[123:124]
	s_delay_alu instid0(VALU_DEP_3) | instskip(NEXT) | instid1(VALU_DEP_2)
	v_add_f64_e32 v[85:86], v[89:90], v[85:86]
	v_fma_f64 v[93:94], v[125:126], s[2:3], v[91:92]
	v_fma_f64 v[89:90], v[125:126], s[2:3], -v[91:92]
	s_delay_alu instid0(VALU_DEP_2) | instskip(SKIP_1) | instid1(VALU_DEP_3)
	v_add_f64_e32 v[81:82], v[93:94], v[81:82]
	v_mul_f64_e32 v[93:94], s[18:19], v[127:128]
	v_add_f64_e32 v[87:88], v[89:90], v[87:88]
	s_delay_alu instid0(VALU_DEP_2) | instskip(SKIP_2) | instid1(VALU_DEP_3)
	v_fma_f64 v[131:132], v[129:130], s[34:35], v[93:94]
	v_fma_f64 v[89:90], v[129:130], s[22:23], v[93:94]
	v_mul_f64_e32 v[93:94], s[10:11], v[58:59]
	v_add_f64_e32 v[83:84], v[131:132], v[83:84]
	v_add_f64_e64 v[131:132], v[44:45], -v[28:29]
	s_delay_alu instid0(VALU_DEP_4) | instskip(NEXT) | instid1(VALU_DEP_2)
	v_add_f64_e32 v[85:86], v[89:90], v[85:86]
	v_mul_f64_e32 v[135:136], s[22:23], v[131:132]
	v_mul_f64_e32 v[173:174], s[16:17], v[131:132]
	s_delay_alu instid0(VALU_DEP_2) | instskip(SKIP_1) | instid1(VALU_DEP_2)
	v_fma_f64 v[137:138], v[133:134], s[18:19], v[135:136]
	v_fma_f64 v[89:90], v[133:134], s[18:19], -v[135:136]
	v_add_f64_e32 v[81:82], v[137:138], v[81:82]
	v_add_f64_e32 v[137:138], v[48:49], v[40:41]
	s_delay_alu instid0(VALU_DEP_3) | instskip(NEXT) | instid1(VALU_DEP_2)
	v_add_f64_e32 v[87:88], v[89:90], v[87:88]
	v_mul_f64_e32 v[141:142], s[6:7], v[137:138]
	v_mul_f64_e32 v[175:176], s[10:11], v[137:138]
	s_delay_alu instid0(VALU_DEP_2) | instskip(SKIP_1) | instid1(VALU_DEP_2)
	v_fma_f64 v[143:144], v[139:140], s[12:13], v[141:142]
	v_fma_f64 v[89:90], v[139:140], s[30:31], v[141:142]
	v_add_f64_e32 v[83:84], v[143:144], v[83:84]
	v_add_f64_e64 v[143:144], v[48:49], -v[40:41]
	s_delay_alu instid0(VALU_DEP_3) | instskip(NEXT) | instid1(VALU_DEP_2)
	v_add_f64_e32 v[85:86], v[89:90], v[85:86]
	v_mul_f64_e32 v[147:148], s[30:31], v[143:144]
	v_mul_f64_e32 v[177:178], s[20:21], v[143:144]
	s_delay_alu instid0(VALU_DEP_2) | instskip(SKIP_1) | instid1(VALU_DEP_2)
	v_fma_f64 v[149:150], v[145:146], s[6:7], v[147:148]
	v_fma_f64 v[89:90], v[145:146], s[6:7], -v[147:148]
	v_add_f64_e32 v[81:82], v[149:150], v[81:82]
	v_add_f64_e32 v[149:150], v[38:39], v[14:15]
	s_delay_alu instid0(VALU_DEP_3) | instskip(NEXT) | instid1(VALU_DEP_2)
	v_add_f64_e32 v[89:90], v[89:90], v[87:88]
	v_mul_f64_e32 v[153:154], s[10:11], v[149:150]
	v_mul_f64_e32 v[179:180], s[36:37], v[149:150]
	s_delay_alu instid0(VALU_DEP_2) | instskip(SKIP_1) | instid1(VALU_DEP_2)
	v_fma_f64 v[155:156], v[151:152], s[26:27], v[153:154]
	v_fma_f64 v[87:88], v[151:152], s[20:21], v[153:154]
	v_add_f64_e32 v[83:84], v[155:156], v[83:84]
	v_add_f64_e64 v[155:156], v[38:39], -v[14:15]
	s_delay_alu instid0(VALU_DEP_3) | instskip(NEXT) | instid1(VALU_DEP_2)
	v_add_f64_e32 v[87:88], v[87:88], v[85:86]
	v_mul_f64_e32 v[159:160], s[20:21], v[155:156]
	v_mul_f64_e32 v[181:182], s[40:41], v[155:156]
	s_delay_alu instid0(VALU_DEP_2) | instskip(SKIP_2) | instid1(VALU_DEP_3)
	v_fma_f64 v[91:92], v[157:158], s[10:11], -v[159:160]
	v_fma_f64 v[161:162], v[157:158], s[10:11], v[159:160]
	v_mul_f64_e32 v[159:160], s[6:7], v[149:150]
	v_add_f64_e32 v[85:86], v[91:92], v[89:90]
	v_fma_f64 v[89:90], v[0:1], s[26:27], v[93:94]
	v_fma_f64 v[91:92], v[68:69], s[10:11], v[95:96]
	;; [unrolled: 1-line block ×3, first 2 shown]
	v_fma_f64 v[95:96], v[68:69], s[10:11], -v[95:96]
	v_add_f64_e32 v[81:82], v[161:162], v[81:82]
	v_mul_f64_e32 v[161:162], s[30:31], v[155:156]
	v_add_f64_e32 v[89:90], v[89:90], v[111:112]
	v_add_f64_e32 v[91:92], v[91:92], v[99:100]
	v_fma_f64 v[99:100], v[70:71], s[22:23], v[97:98]
	v_add_f64_e32 v[93:94], v[93:94], v[113:114]
	v_fma_f64 v[97:98], v[70:71], s[34:35], v[97:98]
	v_add_f64_e32 v[95:96], v[95:96], v[115:116]
	v_mul_f64_e32 v[113:114], s[16:17], v[109:110]
	v_mul_f64_e32 v[115:116], s[36:37], v[121:122]
	v_add_f64_e32 v[89:90], v[99:100], v[89:90]
	v_mul_f64_e32 v[99:100], s[34:35], v[123:124]
	v_add_f64_e32 v[93:94], v[97:98], v[93:94]
	s_delay_alu instid0(VALU_DEP_2) | instskip(SKIP_2) | instid1(VALU_DEP_3)
	v_fma_f64 v[111:112], v[125:126], s[18:19], v[99:100]
	v_fma_f64 v[97:98], v[125:126], s[18:19], -v[99:100]
	v_fma_f64 v[99:100], v[157:158], s[6:7], -v[161:162]
	v_add_f64_e32 v[91:92], v[111:112], v[91:92]
	v_mul_f64_e32 v[111:112], s[0:1], v[127:128]
	s_delay_alu instid0(VALU_DEP_4) | instskip(NEXT) | instid1(VALU_DEP_2)
	v_add_f64_e32 v[95:96], v[97:98], v[95:96]
	v_fma_f64 v[135:136], v[129:130], s[24:25], v[111:112]
	v_fma_f64 v[97:98], v[129:130], s[14:15], v[111:112]
	v_mul_f64_e32 v[111:112], s[2:3], v[58:59]
	s_delay_alu instid0(VALU_DEP_3) | instskip(SKIP_1) | instid1(VALU_DEP_4)
	v_add_f64_e32 v[89:90], v[135:136], v[89:90]
	v_mul_f64_e32 v[135:136], s[14:15], v[131:132]
	v_add_f64_e32 v[93:94], v[97:98], v[93:94]
	s_delay_alu instid0(VALU_DEP_2) | instskip(SKIP_2) | instid1(VALU_DEP_3)
	v_fma_f64 v[141:142], v[133:134], s[0:1], v[135:136]
	v_fma_f64 v[97:98], v[133:134], s[0:1], -v[135:136]
	v_mul_f64_e32 v[135:136], s[10:11], v[127:128]
	v_add_f64_e32 v[91:92], v[141:142], v[91:92]
	v_mul_f64_e32 v[141:142], s[36:37], v[137:138]
	s_delay_alu instid0(VALU_DEP_4) | instskip(NEXT) | instid1(VALU_DEP_2)
	v_add_f64_e32 v[95:96], v[97:98], v[95:96]
	v_fma_f64 v[147:148], v[139:140], s[38:39], v[141:142]
	v_fma_f64 v[97:98], v[139:140], s[40:41], v[141:142]
	v_mul_f64_e32 v[141:142], s[26:27], v[131:132]
	s_delay_alu instid0(VALU_DEP_3) | instskip(SKIP_1) | instid1(VALU_DEP_4)
	v_add_f64_e32 v[89:90], v[147:148], v[89:90]
	v_mul_f64_e32 v[147:148], s[40:41], v[143:144]
	v_add_f64_e32 v[93:94], v[97:98], v[93:94]
	s_delay_alu instid0(VALU_DEP_2) | instskip(SKIP_2) | instid1(VALU_DEP_3)
	v_fma_f64 v[97:98], v[145:146], s[36:37], -v[147:148]
	v_fma_f64 v[153:154], v[145:146], s[36:37], v[147:148]
	v_mul_f64_e32 v[147:148], s[0:1], v[137:138]
	v_add_f64_e32 v[97:98], v[97:98], v[95:96]
	v_fma_f64 v[95:96], v[151:152], s[30:31], v[159:160]
	s_delay_alu instid0(VALU_DEP_4) | instskip(SKIP_2) | instid1(VALU_DEP_4)
	v_add_f64_e32 v[153:154], v[153:154], v[91:92]
	v_fma_f64 v[91:92], v[151:152], s[12:13], v[159:160]
	v_mul_f64_e32 v[159:160], s[18:19], v[149:150]
	v_add_f64_e32 v[95:96], v[95:96], v[93:94]
	v_add_f64_e32 v[93:94], v[99:100], v[97:98]
	v_fma_f64 v[97:98], v[0:1], s[28:29], v[111:112]
	v_fma_f64 v[99:100], v[68:69], s[2:3], v[113:114]
	v_add_f64_e32 v[91:92], v[91:92], v[89:90]
	v_fma_f64 v[89:90], v[157:158], s[6:7], v[161:162]
	v_mul_f64_e32 v[161:162], s[22:23], v[155:156]
	v_fma_f64 v[111:112], v[0:1], s[16:17], v[111:112]
	v_add_f64_e32 v[97:98], v[97:98], v[117:118]
	v_add_f64_e32 v[99:100], v[99:100], v[101:102]
	v_fma_f64 v[101:102], v[70:71], s[38:39], v[115:116]
	v_mul_f64_e32 v[117:118], s[40:41], v[123:124]
	v_add_f64_e32 v[89:90], v[89:90], v[153:154]
	v_mul_f64_e32 v[153:154], s[14:15], v[143:144]
	v_add_f64_e32 v[78:79], v[111:112], v[78:79]
	v_fma_f64 v[111:112], v[68:69], s[2:3], -v[113:114]
	v_fma_f64 v[113:114], v[157:158], s[18:19], -v[161:162]
	v_add_f64_e32 v[97:98], v[101:102], v[97:98]
	v_fma_f64 v[101:102], v[125:126], s[36:37], v[117:118]
	s_delay_alu instid0(VALU_DEP_4) | instskip(SKIP_2) | instid1(VALU_DEP_4)
	v_add_f64_e32 v[76:77], v[111:112], v[76:77]
	v_fma_f64 v[111:112], v[70:71], s[40:41], v[115:116]
	v_mul_f64_e32 v[115:116], s[26:27], v[123:124]
	v_add_f64_e32 v[99:100], v[101:102], v[99:100]
	v_fma_f64 v[101:102], v[129:130], s[20:21], v[135:136]
	s_delay_alu instid0(VALU_DEP_4) | instskip(SKIP_2) | instid1(VALU_DEP_4)
	v_add_f64_e32 v[78:79], v[111:112], v[78:79]
	v_fma_f64 v[111:112], v[125:126], s[36:37], -v[117:118]
	v_mul_f64_e32 v[117:118], s[6:7], v[127:128]
	v_add_f64_e32 v[97:98], v[101:102], v[97:98]
	v_fma_f64 v[101:102], v[133:134], s[10:11], v[141:142]
	s_delay_alu instid0(VALU_DEP_4) | instskip(SKIP_1) | instid1(VALU_DEP_3)
	v_add_f64_e32 v[76:77], v[111:112], v[76:77]
	v_fma_f64 v[111:112], v[129:130], s[26:27], v[135:136]
	v_add_f64_e32 v[99:100], v[101:102], v[99:100]
	v_fma_f64 v[101:102], v[139:140], s[24:25], v[147:148]
	s_delay_alu instid0(VALU_DEP_3) | instskip(SKIP_1) | instid1(VALU_DEP_3)
	v_add_f64_e32 v[78:79], v[111:112], v[78:79]
	v_fma_f64 v[111:112], v[133:134], s[10:11], -v[141:142]
	v_add_f64_e32 v[97:98], v[101:102], v[97:98]
	v_fma_f64 v[101:102], v[145:146], s[0:1], v[153:154]
	s_delay_alu instid0(VALU_DEP_3) | instskip(SKIP_1) | instid1(VALU_DEP_3)
	v_add_f64_e32 v[76:77], v[111:112], v[76:77]
	v_fma_f64 v[111:112], v[139:140], s[14:15], v[147:148]
	v_add_f64_e32 v[101:102], v[101:102], v[99:100]
	v_fma_f64 v[99:100], v[151:152], s[34:35], v[159:160]
	s_delay_alu instid0(VALU_DEP_3) | instskip(SKIP_1) | instid1(VALU_DEP_3)
	v_add_f64_e32 v[78:79], v[111:112], v[78:79]
	v_fma_f64 v[111:112], v[145:146], s[0:1], -v[153:154]
	v_add_f64_e32 v[99:100], v[99:100], v[97:98]
	v_fma_f64 v[97:98], v[157:158], s[18:19], v[161:162]
	s_delay_alu instid0(VALU_DEP_3) | instskip(SKIP_1) | instid1(VALU_DEP_3)
	v_add_f64_e32 v[76:77], v[111:112], v[76:77]
	v_fma_f64 v[111:112], v[151:152], s[22:23], v[159:160]
	v_add_f64_e32 v[97:98], v[97:98], v[101:102]
	v_fma_f64 v[101:102], v[0:1], s[30:31], v[163:164]
	s_delay_alu instid0(VALU_DEP_4) | instskip(NEXT) | instid1(VALU_DEP_4)
	v_add_f64_e32 v[76:77], v[113:114], v[76:77]
	v_add_f64_e32 v[78:79], v[111:112], v[78:79]
	v_fma_f64 v[111:112], v[0:1], s[14:15], v[183:184]
	s_delay_alu instid0(VALU_DEP_4) | instskip(SKIP_1) | instid1(VALU_DEP_3)
	v_add_f64_e32 v[101:102], v[101:102], v[103:104]
	v_fma_f64 v[103:104], v[68:69], s[6:7], -v[165:166]
	v_add_f64_e32 v[74:75], v[111:112], v[74:75]
	s_delay_alu instid0(VALU_DEP_2) | instskip(SKIP_1) | instid1(VALU_DEP_1)
	v_add_f64_e32 v[103:104], v[103:104], v[107:108]
	v_fma_f64 v[107:108], v[70:71], s[24:25], v[167:168]
	v_add_f64_e32 v[101:102], v[107:108], v[101:102]
	v_fma_f64 v[107:108], v[125:126], s[0:1], -v[169:170]
	s_delay_alu instid0(VALU_DEP_1) | instskip(SKIP_1) | instid1(VALU_DEP_1)
	v_add_f64_e32 v[103:104], v[107:108], v[103:104]
	v_fma_f64 v[107:108], v[129:130], s[16:17], v[171:172]
	v_add_f64_e32 v[101:102], v[107:108], v[101:102]
	v_fma_f64 v[107:108], v[133:134], s[2:3], -v[173:174]
	s_delay_alu instid0(VALU_DEP_1) | instskip(SKIP_1) | instid1(VALU_DEP_1)
	;; [unrolled: 5-line block ×4, first 2 shown]
	v_add_f64_e32 v[101:102], v[101:102], v[107:108]
	v_fma_f64 v[107:108], v[0:1], s[24:25], v[183:184]
	v_add_f64_e32 v[107:108], v[107:108], v[119:120]
	v_mul_f64_e32 v[119:120], s[24:25], v[109:110]
	v_mul_f64_e32 v[109:110], s[34:35], v[109:110]
	s_delay_alu instid0(VALU_DEP_2) | instskip(SKIP_2) | instid1(VALU_DEP_3)
	v_fma_f64 v[185:186], v[68:69], s[0:1], -v[119:120]
	v_fma_f64 v[111:112], v[68:69], s[0:1], v[119:120]
	v_mul_f64_e32 v[119:120], s[30:31], v[131:132]
	v_add_f64_e32 v[105:106], v[185:186], v[105:106]
	v_mul_f64_e32 v[185:186], s[6:7], v[121:122]
	s_delay_alu instid0(VALU_DEP_4) | instskip(NEXT) | instid1(VALU_DEP_2)
	v_add_f64_e32 v[72:73], v[111:112], v[72:73]
	v_fma_f64 v[187:188], v[70:71], s[12:13], v[185:186]
	v_fma_f64 v[111:112], v[70:71], s[30:31], v[185:186]
	s_delay_alu instid0(VALU_DEP_2) | instskip(SKIP_1) | instid1(VALU_DEP_3)
	v_add_f64_e32 v[107:108], v[187:188], v[107:108]
	v_mul_f64_e32 v[187:188], s[12:13], v[123:124]
	v_add_f64_e32 v[74:75], v[111:112], v[74:75]
	v_mul_f64_e32 v[123:124], s[28:29], v[143:144]
	s_delay_alu instid0(VALU_DEP_3) | instskip(SKIP_1) | instid1(VALU_DEP_2)
	v_fma_f64 v[189:190], v[125:126], s[6:7], -v[187:188]
	v_fma_f64 v[111:112], v[125:126], s[6:7], v[187:188]
	v_add_f64_e32 v[105:106], v[189:190], v[105:106]
	v_mul_f64_e32 v[189:190], s[36:37], v[127:128]
	s_delay_alu instid0(VALU_DEP_3) | instskip(SKIP_1) | instid1(VALU_DEP_3)
	v_add_f64_e32 v[72:73], v[111:112], v[72:73]
	v_mul_f64_e32 v[127:128], s[0:1], v[149:150]
	v_fma_f64 v[191:192], v[129:130], s[40:41], v[189:190]
	v_fma_f64 v[111:112], v[129:130], s[38:39], v[189:190]
	s_delay_alu instid0(VALU_DEP_2) | instskip(SKIP_1) | instid1(VALU_DEP_3)
	v_add_f64_e32 v[107:108], v[191:192], v[107:108]
	v_mul_f64_e32 v[191:192], s[40:41], v[131:132]
	v_add_f64_e32 v[74:75], v[111:112], v[74:75]
	v_mul_f64_e32 v[131:132], s[24:25], v[155:156]
	s_delay_alu instid0(VALU_DEP_3) | instskip(SKIP_1) | instid1(VALU_DEP_2)
	v_fma_f64 v[193:194], v[133:134], s[36:37], -v[191:192]
	v_fma_f64 v[111:112], v[133:134], s[36:37], v[191:192]
	v_add_f64_e32 v[105:106], v[193:194], v[105:106]
	v_mul_f64_e32 v[193:194], s[18:19], v[137:138]
	s_delay_alu instid0(VALU_DEP_3) | instskip(NEXT) | instid1(VALU_DEP_2)
	v_add_f64_e32 v[72:73], v[111:112], v[72:73]
	v_fma_f64 v[195:196], v[139:140], s[34:35], v[193:194]
	v_fma_f64 v[111:112], v[139:140], s[22:23], v[193:194]
	s_delay_alu instid0(VALU_DEP_2) | instskip(SKIP_1) | instid1(VALU_DEP_3)
	v_add_f64_e32 v[107:108], v[195:196], v[107:108]
	v_mul_f64_e32 v[195:196], s[34:35], v[143:144]
	v_add_f64_e32 v[74:75], v[111:112], v[74:75]
	s_delay_alu instid0(VALU_DEP_2) | instskip(SKIP_1) | instid1(VALU_DEP_2)
	v_fma_f64 v[197:198], v[145:146], s[18:19], -v[195:196]
	v_fma_f64 v[111:112], v[145:146], s[18:19], v[195:196]
	v_add_f64_e32 v[105:106], v[197:198], v[105:106]
	v_mul_f64_e32 v[197:198], s[2:3], v[149:150]
	s_delay_alu instid0(VALU_DEP_3) | instskip(NEXT) | instid1(VALU_DEP_2)
	v_add_f64_e32 v[72:73], v[111:112], v[72:73]
	v_fma_f64 v[111:112], v[151:152], s[16:17], v[197:198]
	v_fma_f64 v[199:200], v[151:152], s[28:29], v[197:198]
	s_delay_alu instid0(VALU_DEP_2) | instskip(SKIP_1) | instid1(VALU_DEP_3)
	v_add_f64_e32 v[74:75], v[111:112], v[74:75]
	v_fma_f64 v[111:112], v[0:1], s[12:13], v[163:164]
	v_add_f64_e32 v[107:108], v[199:200], v[107:108]
	v_mul_f64_e32 v[199:200], s[28:29], v[155:156]
	s_delay_alu instid0(VALU_DEP_3) | instskip(SKIP_1) | instid1(VALU_DEP_3)
	v_add_f64_e32 v[66:67], v[111:112], v[66:67]
	v_fma_f64 v[111:112], v[68:69], s[6:7], v[165:166]
	v_fma_f64 v[113:114], v[157:158], s[2:3], v[199:200]
	v_fma_f64 v[201:202], v[157:158], s[2:3], -v[199:200]
	s_delay_alu instid0(VALU_DEP_3) | instskip(SKIP_1) | instid1(VALU_DEP_4)
	v_add_f64_e32 v[64:65], v[111:112], v[64:65]
	v_fma_f64 v[111:112], v[70:71], s[14:15], v[167:168]
	v_add_f64_e32 v[72:73], v[113:114], v[72:73]
	v_fma_f64 v[113:114], v[157:158], s[36:37], v[181:182]
	v_add_f64_e32 v[105:106], v[201:202], v[105:106]
	s_delay_alu instid0(VALU_DEP_4) | instskip(SKIP_1) | instid1(VALU_DEP_1)
	v_add_f64_e32 v[66:67], v[111:112], v[66:67]
	v_fma_f64 v[111:112], v[125:126], s[0:1], v[169:170]
	v_add_f64_e32 v[64:65], v[111:112], v[64:65]
	v_fma_f64 v[111:112], v[129:130], s[28:29], v[171:172]
	s_delay_alu instid0(VALU_DEP_1) | instskip(SKIP_1) | instid1(VALU_DEP_1)
	v_add_f64_e32 v[66:67], v[111:112], v[66:67]
	v_fma_f64 v[111:112], v[133:134], s[2:3], v[173:174]
	v_add_f64_e32 v[64:65], v[111:112], v[64:65]
	v_fma_f64 v[111:112], v[139:140], s[26:27], v[175:176]
	s_delay_alu instid0(VALU_DEP_1) | instskip(SKIP_1) | instid1(VALU_DEP_1)
	v_add_f64_e32 v[66:67], v[111:112], v[66:67]
	v_fma_f64 v[111:112], v[145:146], s[10:11], v[177:178]
	v_add_f64_e32 v[64:65], v[111:112], v[64:65]
	v_fma_f64 v[111:112], v[151:152], s[38:39], v[179:180]
	s_delay_alu instid0(VALU_DEP_2) | instskip(NEXT) | instid1(VALU_DEP_2)
	v_add_f64_e32 v[64:65], v[113:114], v[64:65]
	v_add_f64_e32 v[66:67], v[111:112], v[66:67]
	v_mul_f64_e32 v[111:112], s[18:19], v[58:59]
	v_mul_f64_e32 v[113:114], s[10:11], v[121:122]
	;; [unrolled: 1-line block ×3, first 2 shown]
	s_delay_alu instid0(VALU_DEP_3) | instskip(SKIP_1) | instid1(VALU_DEP_2)
	v_fma_f64 v[58:59], v[0:1], s[34:35], v[111:112]
	v_fma_f64 v[0:1], v[0:1], s[22:23], v[111:112]
	v_add_f64_e32 v[56:57], v[58:59], v[56:57]
	v_fma_f64 v[58:59], v[68:69], s[18:19], -v[109:110]
	s_delay_alu instid0(VALU_DEP_3) | instskip(NEXT) | instid1(VALU_DEP_2)
	v_add_f64_e32 v[0:1], v[0:1], v[52:53]
	v_add_f64_e32 v[2:3], v[58:59], v[2:3]
	v_fma_f64 v[58:59], v[70:71], s[26:27], v[113:114]
	s_delay_alu instid0(VALU_DEP_1) | instskip(SKIP_1) | instid1(VALU_DEP_1)
	v_add_f64_e32 v[56:57], v[58:59], v[56:57]
	v_fma_f64 v[58:59], v[125:126], s[10:11], -v[115:116]
	v_add_f64_e32 v[2:3], v[58:59], v[2:3]
	v_fma_f64 v[58:59], v[129:130], s[30:31], v[117:118]
	s_delay_alu instid0(VALU_DEP_1) | instskip(SKIP_1) | instid1(VALU_DEP_1)
	v_add_f64_e32 v[56:57], v[58:59], v[56:57]
	v_fma_f64 v[58:59], v[133:134], s[6:7], -v[119:120]
	;; [unrolled: 5-line block ×4, first 2 shown]
	v_add_f64_e32 v[56:57], v[56:57], v[2:3]
	v_add_f64_e32 v[2:3], v[20:21], v[10:11]
	;; [unrolled: 1-line block ×3, first 2 shown]
	s_delay_alu instid0(VALU_DEP_2) | instskip(NEXT) | instid1(VALU_DEP_2)
	v_add_f64_e32 v[2:3], v[2:3], v[34:35]
	v_add_f64_e32 v[10:11], v[10:11], v[50:51]
	s_delay_alu instid0(VALU_DEP_2) | instskip(NEXT) | instid1(VALU_DEP_2)
	v_add_f64_e32 v[2:3], v[2:3], v[44:45]
	v_add_f64_e32 v[10:11], v[10:11], v[46:47]
	;; [unrolled: 3-line block ×4, first 2 shown]
	v_fma_f64 v[12:13], v[129:130], s[12:13], v[117:118]
	s_delay_alu instid0(VALU_DEP_3) | instskip(NEXT) | instid1(VALU_DEP_3)
	v_add_f64_e32 v[2:3], v[2:3], v[14:15]
	v_add_f64_e32 v[8:9], v[10:11], v[8:9]
	v_fma_f64 v[10:11], v[125:126], s[10:11], v[115:116]
	v_fma_f64 v[14:15], v[133:134], s[6:7], v[119:120]
	s_delay_alu instid0(VALU_DEP_4) | instskip(NEXT) | instid1(VALU_DEP_4)
	v_add_f64_e32 v[2:3], v[2:3], v[40:41]
	v_add_f64_e32 v[8:9], v[8:9], v[36:37]
	s_delay_alu instid0(VALU_DEP_2) | instskip(NEXT) | instid1(VALU_DEP_2)
	v_add_f64_e32 v[2:3], v[2:3], v[28:29]
	v_add_f64_e32 v[8:9], v[8:9], v[30:31]
	s_delay_alu instid0(VALU_DEP_2) | instskip(NEXT) | instid1(VALU_DEP_2)
	;; [unrolled: 3-line block ×3, first 2 shown]
	v_add_f64_e32 v[2:3], v[2:3], v[4:5]
	v_add_f64_e32 v[6:7], v[8:9], v[6:7]
	v_fma_f64 v[8:9], v[70:71], s[20:21], v[113:114]
	s_delay_alu instid0(VALU_DEP_3) | instskip(NEXT) | instid1(VALU_DEP_3)
	v_add_f64_e32 v[4:5], v[2:3], v[16:17]
	v_add_f64_e32 v[2:3], v[6:7], v[18:19]
	v_fma_f64 v[6:7], v[68:69], s[18:19], v[109:110]
	s_delay_alu instid0(VALU_DEP_4) | instskip(SKIP_1) | instid1(VALU_DEP_3)
	v_add_f64_e32 v[0:1], v[8:9], v[0:1]
	v_fma_f64 v[8:9], v[139:140], s[16:17], v[121:122]
	v_add_f64_e32 v[6:7], v[6:7], v[54:55]
	s_delay_alu instid0(VALU_DEP_3) | instskip(SKIP_1) | instid1(VALU_DEP_3)
	v_add_f64_e32 v[0:1], v[12:13], v[0:1]
	v_fma_f64 v[12:13], v[151:152], s[14:15], v[127:128]
	v_add_f64_e32 v[6:7], v[10:11], v[6:7]
	v_fma_f64 v[10:11], v[145:146], s[2:3], v[123:124]
	s_delay_alu instid0(VALU_DEP_4) | instskip(NEXT) | instid1(VALU_DEP_3)
	v_add_f64_e32 v[0:1], v[8:9], v[0:1]
	v_add_f64_e32 v[6:7], v[14:15], v[6:7]
	v_fma_f64 v[14:15], v[157:158], s[0:1], v[131:132]
	s_delay_alu instid0(VALU_DEP_3) | instskip(SKIP_1) | instid1(VALU_DEP_1)
	v_add_f64_e32 v[8:9], v[12:13], v[0:1]
	v_lshrrev_b32_e32 v0, 1, v60
	v_mul_u32_u24_e32 v0, 26, v0
	s_delay_alu instid0(VALU_DEP_1) | instskip(NEXT) | instid1(VALU_DEP_1)
	v_or_b32_e32 v0, v0, v61
	v_lshl_add_u32 v0, v0, 4, 0
	v_add_f64_e32 v[6:7], v[10:11], v[6:7]
	s_delay_alu instid0(VALU_DEP_1)
	v_add_f64_e32 v[6:7], v[14:15], v[6:7]
	ds_store_b128 v0, v[101:104] offset:64
	ds_store_b128 v0, v[105:108] offset:96
	;; [unrolled: 1-line block ×11, first 2 shown]
	ds_store_b128 v0, v[2:5]
	ds_store_b128 v0, v[6:9] offset:384
.LBB0_25:
	s_or_b32 exec_lo, exec_lo, s33
	v_and_b32_e32 v0, 0xff, v60
	global_wb scope:SCOPE_SE
	s_wait_dscnt 0x0
	s_barrier_signal -1
	s_barrier_wait -1
	global_inv scope:SCOPE_SE
	v_mul_lo_u16 v0, 0x4f, v0
	s_mov_b32 s2, 0x37e14327
	s_mov_b32 s6, 0xe976ee23
	;; [unrolled: 1-line block ×4, first 2 shown]
	v_lshrrev_b16 v61, 11, v0
	s_mov_b32 s0, 0x429ad128
	s_mov_b32 s1, 0x3febfeb5
	;; [unrolled: 1-line block ×4, first 2 shown]
	v_mul_lo_u16 v0, v61, 26
	s_mov_b32 s12, 0xaaaaaaaa
	s_mov_b32 s18, 0xb247c609
	;; [unrolled: 1-line block ×4, first 2 shown]
	v_sub_nc_u16 v0, v60, v0
	s_mov_b32 s19, 0x3fd5d0dc
	s_mov_b32 s15, 0x3fe77f67
	;; [unrolled: 1-line block ×4, first 2 shown]
	v_and_b32_e32 v64, 0xff, v0
	s_wait_alu 0xfffe
	s_mov_b32 s16, s14
	s_mov_b32 s20, s18
	;; [unrolled: 1-line block ×4, first 2 shown]
	v_mul_u32_u24_e32 v0, 6, v64
	s_delay_alu instid0(VALU_DEP_1)
	v_lshlrev_b32_e32 v20, 4, v0
	s_clause 0x5
	global_load_b128 v[0:3], v20, s[4:5] offset:384
	global_load_b128 v[4:7], v20, s[4:5] offset:400
	;; [unrolled: 1-line block ×6, first 2 shown]
	ds_load_b128 v[24:27], v80 offset:2912
	ds_load_b128 v[28:31], v80 offset:5824
	ds_load_b128 v[32:35], v80 offset:17472
	ds_load_b128 v[36:39], v80 offset:14560
	ds_load_b128 v[40:43], v80 offset:8736
	ds_load_b128 v[44:47], v80 offset:11648
	s_wait_loadcnt_dscnt 0x505
	v_mul_f64_e32 v[48:49], v[26:27], v[2:3]
	v_mul_f64_e32 v[2:3], v[24:25], v[2:3]
	s_wait_loadcnt_dscnt 0x404
	v_mul_f64_e32 v[50:51], v[30:31], v[6:7]
	v_mul_f64_e32 v[6:7], v[28:29], v[6:7]
	;; [unrolled: 3-line block ×6, first 2 shown]
	v_fma_f64 v[24:25], v[24:25], v[0:1], -v[48:49]
	v_fma_f64 v[0:1], v[26:27], v[0:1], v[2:3]
	v_fma_f64 v[2:3], v[28:29], v[4:5], -v[50:51]
	v_fma_f64 v[4:5], v[30:31], v[4:5], v[6:7]
	;; [unrolled: 2-line block ×6, first 2 shown]
	v_add_f64_e32 v[22:23], v[24:25], v[6:7]
	v_add_f64_e32 v[26:27], v[0:1], v[8:9]
	v_add_f64_e32 v[28:29], v[2:3], v[10:11]
	v_add_f64_e32 v[30:31], v[4:5], v[12:13]
	v_add_f64_e64 v[10:11], v[2:3], -v[10:11]
	v_add_f64_e64 v[4:5], v[4:5], -v[12:13]
	v_add_f64_e32 v[2:3], v[14:15], v[18:19]
	v_add_f64_e32 v[12:13], v[16:17], v[20:21]
	v_add_f64_e64 v[14:15], v[18:19], -v[14:15]
	v_add_f64_e64 v[16:17], v[20:21], -v[16:17]
	;; [unrolled: 1-line block ×4, first 2 shown]
	v_add_f64_e32 v[0:1], v[28:29], v[22:23]
	v_add_f64_e32 v[18:19], v[30:31], v[26:27]
	v_add_f64_e64 v[20:21], v[22:23], -v[2:3]
	v_add_f64_e64 v[24:25], v[26:27], -v[12:13]
	v_add_f64_e64 v[32:33], v[14:15], -v[10:11]
	v_add_f64_e64 v[34:35], v[16:17], -v[4:5]
	v_add_f64_e64 v[38:39], v[4:5], -v[8:9]
	v_add_f64_e64 v[36:37], v[10:11], -v[6:7]
	v_add_f64_e64 v[42:43], v[2:3], -v[28:29]
	v_add_f64_e32 v[10:11], v[14:15], v[10:11]
	v_add_f64_e32 v[4:5], v[16:17], v[4:5]
	v_add_f64_e64 v[14:15], v[6:7], -v[14:15]
	v_add_f64_e64 v[16:17], v[8:9], -v[16:17]
	v_add_f64_e64 v[22:23], v[28:29], -v[22:23]
	v_add_f64_e64 v[26:27], v[30:31], -v[26:27]
	v_add_f64_e32 v[40:41], v[2:3], v[0:1]
	v_add_f64_e32 v[18:19], v[12:13], v[18:19]
	v_add_f64_e64 v[12:13], v[12:13], -v[30:31]
	ds_load_b128 v[0:3], v80
	v_mul_f64_e32 v[20:21], s[2:3], v[20:21]
	v_mul_f64_e32 v[24:25], s[2:3], v[24:25]
	;; [unrolled: 1-line block ×7, first 2 shown]
	v_add_f64_e32 v[6:7], v[10:11], v[6:7]
	v_add_f64_e32 v[4:5], v[4:5], v[8:9]
	global_wb scope:SCOPE_SE
	s_wait_dscnt 0x0
	s_barrier_signal -1
	s_barrier_wait -1
	global_inv scope:SCOPE_SE
	v_add_f64_e32 v[0:1], v[0:1], v[40:41]
	v_add_f64_e32 v[2:3], v[2:3], v[18:19]
	v_mul_f64_e32 v[30:31], s[10:11], v[12:13]
	v_fma_f64 v[8:9], v[42:43], s[10:11], v[20:21]
	v_fma_f64 v[10:11], v[12:13], s[10:11], v[24:25]
	;; [unrolled: 1-line block ×4, first 2 shown]
	v_fma_f64 v[32:33], v[36:37], s[0:1], -v[32:33]
	s_wait_alu 0xfffe
	v_fma_f64 v[14:15], v[14:15], s[20:21], -v[44:45]
	v_fma_f64 v[16:17], v[16:17], s[20:21], -v[46:47]
	;; [unrolled: 1-line block ×6, first 2 shown]
	v_fma_f64 v[36:37], v[40:41], s[12:13], v[0:1]
	v_fma_f64 v[18:19], v[18:19], s[12:13], v[2:3]
	v_fma_f64 v[26:27], v[26:27], s[14:15], -v[30:31]
	v_fma_f64 v[28:29], v[6:7], s[22:23], v[12:13]
	v_fma_f64 v[30:31], v[4:5], s[22:23], v[42:43]
	;; [unrolled: 1-line block ×6, first 2 shown]
	v_add_f64_e32 v[42:43], v[8:9], v[36:37]
	v_add_f64_e32 v[44:45], v[10:11], v[18:19]
	;; [unrolled: 1-line block ×7, first 2 shown]
	v_add_f64_e64 v[6:7], v[44:45], -v[28:29]
	v_add_f64_e32 v[8:9], v[40:41], v[20:21]
	v_add_f64_e64 v[10:11], v[24:25], -v[38:39]
	v_add_f64_e64 v[12:13], v[16:17], -v[34:35]
	v_add_f64_e32 v[14:15], v[32:33], v[18:19]
	v_add_f64_e32 v[16:17], v[34:35], v[16:17]
	v_add_f64_e64 v[18:19], v[18:19], -v[32:33]
	v_add_f64_e64 v[20:21], v[20:21], -v[40:41]
	v_add_f64_e32 v[22:23], v[38:39], v[24:25]
	v_add_f64_e64 v[24:25], v[42:43], -v[30:31]
	v_add_f64_e32 v[26:27], v[28:29], v[44:45]
	v_and_b32_e32 v28, 0xffff, v61
	v_mul_u32_u24_e32 v29, 6, v60
	v_lshlrev_b32_e32 v30, 4, v64
	s_delay_alu instid0(VALU_DEP_3) | instskip(NEXT) | instid1(VALU_DEP_3)
	v_mul_u32_u24_e32 v28, 0xb60, v28
	v_lshlrev_b32_e32 v29, 4, v29
	s_delay_alu instid0(VALU_DEP_2)
	v_add3_u32 v28, 0, v28, v30
	ds_store_b128 v28, v[0:3]
	ds_store_b128 v28, v[4:7] offset:416
	ds_store_b128 v28, v[8:11] offset:832
	;; [unrolled: 1-line block ×6, first 2 shown]
	global_wb scope:SCOPE_SE
	s_wait_dscnt 0x0
	s_barrier_signal -1
	s_barrier_wait -1
	global_inv scope:SCOPE_SE
	s_clause 0x5
	global_load_b128 v[0:3], v29, s[4:5] offset:2880
	global_load_b128 v[4:7], v29, s[4:5] offset:2896
	;; [unrolled: 1-line block ×6, first 2 shown]
	ds_load_b128 v[24:27], v80 offset:2912
	ds_load_b128 v[28:31], v80 offset:5824
	;; [unrolled: 1-line block ×6, first 2 shown]
	s_wait_loadcnt_dscnt 0x505
	v_mul_f64_e32 v[48:49], v[26:27], v[2:3]
	v_mul_f64_e32 v[2:3], v[24:25], v[2:3]
	s_wait_loadcnt_dscnt 0x404
	v_mul_f64_e32 v[50:51], v[30:31], v[6:7]
	v_mul_f64_e32 v[6:7], v[28:29], v[6:7]
	;; [unrolled: 3-line block ×6, first 2 shown]
	v_fma_f64 v[24:25], v[24:25], v[0:1], -v[48:49]
	v_fma_f64 v[0:1], v[26:27], v[0:1], v[2:3]
	v_fma_f64 v[2:3], v[28:29], v[4:5], -v[50:51]
	v_fma_f64 v[4:5], v[30:31], v[4:5], v[6:7]
	;; [unrolled: 2-line block ×6, first 2 shown]
	v_add_f64_e32 v[22:23], v[24:25], v[6:7]
	v_add_f64_e32 v[26:27], v[0:1], v[8:9]
	v_add_f64_e32 v[28:29], v[2:3], v[10:11]
	v_add_f64_e32 v[30:31], v[4:5], v[12:13]
	v_add_f64_e64 v[10:11], v[2:3], -v[10:11]
	v_add_f64_e64 v[4:5], v[4:5], -v[12:13]
	v_add_f64_e32 v[2:3], v[14:15], v[18:19]
	v_add_f64_e32 v[12:13], v[16:17], v[20:21]
	v_add_f64_e64 v[14:15], v[18:19], -v[14:15]
	v_add_f64_e64 v[16:17], v[20:21], -v[16:17]
	;; [unrolled: 1-line block ×4, first 2 shown]
	v_add_f64_e32 v[0:1], v[28:29], v[22:23]
	v_add_f64_e32 v[18:19], v[30:31], v[26:27]
	v_add_f64_e64 v[20:21], v[22:23], -v[2:3]
	v_add_f64_e64 v[24:25], v[26:27], -v[12:13]
	;; [unrolled: 1-line block ×7, first 2 shown]
	v_add_f64_e32 v[10:11], v[14:15], v[10:11]
	v_add_f64_e32 v[4:5], v[16:17], v[4:5]
	v_add_f64_e64 v[14:15], v[6:7], -v[14:15]
	v_add_f64_e64 v[16:17], v[8:9], -v[16:17]
	v_add_f64_e64 v[22:23], v[28:29], -v[22:23]
	v_add_f64_e64 v[26:27], v[30:31], -v[26:27]
	v_add_f64_e32 v[40:41], v[2:3], v[0:1]
	v_add_f64_e32 v[18:19], v[12:13], v[18:19]
	v_add_f64_e64 v[12:13], v[12:13], -v[30:31]
	ds_load_b128 v[0:3], v80
	v_mul_f64_e32 v[20:21], s[2:3], v[20:21]
	v_mul_f64_e32 v[24:25], s[2:3], v[24:25]
	;; [unrolled: 1-line block ×7, first 2 shown]
	v_add_f64_e32 v[6:7], v[10:11], v[6:7]
	v_add_f64_e32 v[4:5], v[4:5], v[8:9]
	global_wb scope:SCOPE_SE
	s_wait_dscnt 0x0
	s_barrier_signal -1
	s_barrier_wait -1
	global_inv scope:SCOPE_SE
	v_add_f64_e32 v[0:1], v[0:1], v[40:41]
	v_add_f64_e32 v[2:3], v[2:3], v[18:19]
	v_mul_f64_e32 v[30:31], s[10:11], v[12:13]
	v_fma_f64 v[8:9], v[42:43], s[10:11], v[20:21]
	v_fma_f64 v[10:11], v[12:13], s[10:11], v[24:25]
	;; [unrolled: 1-line block ×4, first 2 shown]
	v_fma_f64 v[32:33], v[36:37], s[0:1], -v[32:33]
	v_fma_f64 v[14:15], v[14:15], s[20:21], -v[44:45]
	;; [unrolled: 1-line block ×7, first 2 shown]
	v_fma_f64 v[36:37], v[40:41], s[12:13], v[0:1]
	v_fma_f64 v[18:19], v[18:19], s[12:13], v[2:3]
	v_fma_f64 v[26:27], v[26:27], s[14:15], -v[30:31]
	v_fma_f64 v[28:29], v[6:7], s[22:23], v[12:13]
	v_fma_f64 v[30:31], v[4:5], s[22:23], v[42:43]
	;; [unrolled: 1-line block ×6, first 2 shown]
	v_add_f64_e32 v[42:43], v[8:9], v[36:37]
	v_add_f64_e32 v[44:45], v[10:11], v[18:19]
	;; [unrolled: 1-line block ×7, first 2 shown]
	v_add_f64_e64 v[6:7], v[44:45], -v[28:29]
	v_add_f64_e32 v[8:9], v[40:41], v[20:21]
	v_add_f64_e64 v[10:11], v[24:25], -v[38:39]
	v_add_f64_e64 v[12:13], v[16:17], -v[34:35]
	v_add_f64_e32 v[14:15], v[32:33], v[18:19]
	v_add_f64_e32 v[16:17], v[34:35], v[16:17]
	v_add_f64_e64 v[18:19], v[18:19], -v[32:33]
	v_add_f64_e64 v[20:21], v[20:21], -v[40:41]
	v_add_f64_e32 v[22:23], v[38:39], v[24:25]
	v_add_f64_e64 v[24:25], v[42:43], -v[30:31]
	v_add_f64_e32 v[26:27], v[28:29], v[44:45]
	ds_store_b128 v80, v[0:3]
	ds_store_b128 v80, v[4:7] offset:2912
	ds_store_b128 v80, v[8:11] offset:5824
	;; [unrolled: 1-line block ×6, first 2 shown]
	global_wb scope:SCOPE_SE
	s_wait_dscnt 0x0
	s_barrier_signal -1
	s_barrier_wait -1
	global_inv scope:SCOPE_SE
	s_and_saveexec_b32 s0, vcc_lo
	s_cbranch_execz .LBB0_27
; %bb.26:
	v_lshl_add_u32 v16, v60, 4, 0
	v_dual_mov_b32 v61, 0 :: v_dual_add_nc_u32 v8, 0xb6, v60
	v_add_co_u32 v30, vcc_lo, s8, v62
	ds_load_b128 v[0:3], v16
	ds_load_b128 v[4:7], v16 offset:2912
	v_dual_mov_b32 v9, v61 :: v_dual_add_nc_u32 v12, 0x16c, v60
	v_lshlrev_b64_e32 v[10:11], 4, v[60:61]
	s_wait_alu 0xfffd
	v_add_co_ci_u32_e32 v31, vcc_lo, s9, v63, vcc_lo
	s_delay_alu instid0(VALU_DEP_3) | instskip(SKIP_1) | instid1(VALU_DEP_4)
	v_lshlrev_b64_e32 v[8:9], 4, v[8:9]
	v_dual_mov_b32 v13, v61 :: v_dual_add_nc_u32 v14, 0x222, v60
	v_add_co_u32 v10, vcc_lo, v30, v10
	s_wait_alu 0xfffd
	v_add_co_ci_u32_e32 v11, vcc_lo, v31, v11, vcc_lo
	s_delay_alu instid0(VALU_DEP_4)
	v_add_co_u32 v8, vcc_lo, v30, v8
	v_mov_b32_e32 v15, v61
	s_wait_alu 0xfffd
	v_add_co_ci_u32_e32 v9, vcc_lo, v31, v9, vcc_lo
	v_lshlrev_b64_e32 v[12:13], 4, v[12:13]
	v_mov_b32_e32 v25, v61
	s_wait_dscnt 0x1
	global_store_b128 v[10:11], v[0:3], off
	s_wait_dscnt 0x0
	global_store_b128 v[8:9], v[4:7], off
	v_add_nc_u32_e32 v10, 0x2d8, v60
	v_lshlrev_b64_e32 v[8:9], 4, v[14:15]
	v_dual_mov_b32 v11, v61 :: v_dual_add_nc_u32 v24, 0x38e, v60
	v_add_co_u32 v20, vcc_lo, v30, v12
	s_wait_alu 0xfffd
	v_add_co_ci_u32_e32 v21, vcc_lo, v31, v13, vcc_lo
	s_delay_alu instid0(VALU_DEP_4)
	v_add_co_u32 v22, vcc_lo, v30, v8
	ds_load_b128 v[0:3], v16 offset:5824
	ds_load_b128 v[4:7], v16 offset:8736
	s_wait_alu 0xfffd
	v_add_co_ci_u32_e32 v23, vcc_lo, v31, v9, vcc_lo
	v_lshlrev_b64_e32 v[26:27], 4, v[10:11]
	ds_load_b128 v[8:11], v16 offset:11648
	ds_load_b128 v[12:15], v16 offset:14560
	;; [unrolled: 1-line block ×3, first 2 shown]
	v_add_nc_u32_e32 v60, 0x444, v60
	v_lshlrev_b64_e32 v[24:25], 4, v[24:25]
	v_add_co_u32 v26, vcc_lo, v30, v26
	s_delay_alu instid0(VALU_DEP_3) | instskip(SKIP_2) | instid1(VALU_DEP_4)
	v_lshlrev_b64_e32 v[28:29], 4, v[60:61]
	s_wait_alu 0xfffd
	v_add_co_ci_u32_e32 v27, vcc_lo, v31, v27, vcc_lo
	v_add_co_u32 v24, vcc_lo, v30, v24
	s_wait_alu 0xfffd
	v_add_co_ci_u32_e32 v25, vcc_lo, v31, v25, vcc_lo
	v_add_co_u32 v28, vcc_lo, v30, v28
	s_wait_alu 0xfffd
	v_add_co_ci_u32_e32 v29, vcc_lo, v31, v29, vcc_lo
	s_wait_dscnt 0x4
	global_store_b128 v[20:21], v[0:3], off
	s_wait_dscnt 0x3
	global_store_b128 v[22:23], v[4:7], off
	;; [unrolled: 2-line block ×5, first 2 shown]
.LBB0_27:
	s_nop 0
	s_sendmsg sendmsg(MSG_DEALLOC_VGPRS)
	s_endpgm
	.section	.rodata,"a",@progbits
	.p2align	6, 0x0
	.amdhsa_kernel fft_rtc_fwd_len1274_factors_2_13_7_7_wgs_182_tpt_182_halfLds_dp_ip_CI_unitstride_sbrr_C2R_dirReg
		.amdhsa_group_segment_fixed_size 0
		.amdhsa_private_segment_fixed_size 0
		.amdhsa_kernarg_size 88
		.amdhsa_user_sgpr_count 2
		.amdhsa_user_sgpr_dispatch_ptr 0
		.amdhsa_user_sgpr_queue_ptr 0
		.amdhsa_user_sgpr_kernarg_segment_ptr 1
		.amdhsa_user_sgpr_dispatch_id 0
		.amdhsa_user_sgpr_private_segment_size 0
		.amdhsa_wavefront_size32 1
		.amdhsa_uses_dynamic_stack 0
		.amdhsa_enable_private_segment 0
		.amdhsa_system_sgpr_workgroup_id_x 1
		.amdhsa_system_sgpr_workgroup_id_y 0
		.amdhsa_system_sgpr_workgroup_id_z 0
		.amdhsa_system_sgpr_workgroup_info 0
		.amdhsa_system_vgpr_workitem_id 0
		.amdhsa_next_free_vgpr 203
		.amdhsa_next_free_sgpr 42
		.amdhsa_reserve_vcc 1
		.amdhsa_float_round_mode_32 0
		.amdhsa_float_round_mode_16_64 0
		.amdhsa_float_denorm_mode_32 3
		.amdhsa_float_denorm_mode_16_64 3
		.amdhsa_fp16_overflow 0
		.amdhsa_workgroup_processor_mode 1
		.amdhsa_memory_ordered 1
		.amdhsa_forward_progress 0
		.amdhsa_round_robin_scheduling 0
		.amdhsa_exception_fp_ieee_invalid_op 0
		.amdhsa_exception_fp_denorm_src 0
		.amdhsa_exception_fp_ieee_div_zero 0
		.amdhsa_exception_fp_ieee_overflow 0
		.amdhsa_exception_fp_ieee_underflow 0
		.amdhsa_exception_fp_ieee_inexact 0
		.amdhsa_exception_int_div_zero 0
	.end_amdhsa_kernel
	.text
.Lfunc_end0:
	.size	fft_rtc_fwd_len1274_factors_2_13_7_7_wgs_182_tpt_182_halfLds_dp_ip_CI_unitstride_sbrr_C2R_dirReg, .Lfunc_end0-fft_rtc_fwd_len1274_factors_2_13_7_7_wgs_182_tpt_182_halfLds_dp_ip_CI_unitstride_sbrr_C2R_dirReg
                                        ; -- End function
	.section	.AMDGPU.csdata,"",@progbits
; Kernel info:
; codeLenInByte = 9184
; NumSgprs: 44
; NumVgprs: 203
; ScratchSize: 0
; MemoryBound: 0
; FloatMode: 240
; IeeeMode: 1
; LDSByteSize: 0 bytes/workgroup (compile time only)
; SGPRBlocks: 5
; VGPRBlocks: 25
; NumSGPRsForWavesPerEU: 44
; NumVGPRsForWavesPerEU: 203
; Occupancy: 7
; WaveLimiterHint : 1
; COMPUTE_PGM_RSRC2:SCRATCH_EN: 0
; COMPUTE_PGM_RSRC2:USER_SGPR: 2
; COMPUTE_PGM_RSRC2:TRAP_HANDLER: 0
; COMPUTE_PGM_RSRC2:TGID_X_EN: 1
; COMPUTE_PGM_RSRC2:TGID_Y_EN: 0
; COMPUTE_PGM_RSRC2:TGID_Z_EN: 0
; COMPUTE_PGM_RSRC2:TIDIG_COMP_CNT: 0
	.text
	.p2alignl 7, 3214868480
	.fill 96, 4, 3214868480
	.type	__hip_cuid_6bb35bcb6dc115a,@object ; @__hip_cuid_6bb35bcb6dc115a
	.section	.bss,"aw",@nobits
	.globl	__hip_cuid_6bb35bcb6dc115a
__hip_cuid_6bb35bcb6dc115a:
	.byte	0                               ; 0x0
	.size	__hip_cuid_6bb35bcb6dc115a, 1

	.ident	"AMD clang version 19.0.0git (https://github.com/RadeonOpenCompute/llvm-project roc-6.4.0 25133 c7fe45cf4b819c5991fe208aaa96edf142730f1d)"
	.section	".note.GNU-stack","",@progbits
	.addrsig
	.addrsig_sym __hip_cuid_6bb35bcb6dc115a
	.amdgpu_metadata
---
amdhsa.kernels:
  - .args:
      - .actual_access:  read_only
        .address_space:  global
        .offset:         0
        .size:           8
        .value_kind:     global_buffer
      - .offset:         8
        .size:           8
        .value_kind:     by_value
      - .actual_access:  read_only
        .address_space:  global
        .offset:         16
        .size:           8
        .value_kind:     global_buffer
      - .actual_access:  read_only
        .address_space:  global
        .offset:         24
        .size:           8
        .value_kind:     global_buffer
      - .offset:         32
        .size:           8
        .value_kind:     by_value
      - .actual_access:  read_only
        .address_space:  global
        .offset:         40
        .size:           8
        .value_kind:     global_buffer
      - .actual_access:  read_only
        .address_space:  global
        .offset:         48
        .size:           8
        .value_kind:     global_buffer
      - .offset:         56
        .size:           4
        .value_kind:     by_value
      - .actual_access:  read_only
        .address_space:  global
        .offset:         64
        .size:           8
        .value_kind:     global_buffer
      - .actual_access:  read_only
        .address_space:  global
        .offset:         72
        .size:           8
        .value_kind:     global_buffer
      - .address_space:  global
        .offset:         80
        .size:           8
        .value_kind:     global_buffer
    .group_segment_fixed_size: 0
    .kernarg_segment_align: 8
    .kernarg_segment_size: 88
    .language:       OpenCL C
    .language_version:
      - 2
      - 0
    .max_flat_workgroup_size: 182
    .name:           fft_rtc_fwd_len1274_factors_2_13_7_7_wgs_182_tpt_182_halfLds_dp_ip_CI_unitstride_sbrr_C2R_dirReg
    .private_segment_fixed_size: 0
    .sgpr_count:     44
    .sgpr_spill_count: 0
    .symbol:         fft_rtc_fwd_len1274_factors_2_13_7_7_wgs_182_tpt_182_halfLds_dp_ip_CI_unitstride_sbrr_C2R_dirReg.kd
    .uniform_work_group_size: 1
    .uses_dynamic_stack: false
    .vgpr_count:     203
    .vgpr_spill_count: 0
    .wavefront_size: 32
    .workgroup_processor_mode: 1
amdhsa.target:   amdgcn-amd-amdhsa--gfx1201
amdhsa.version:
  - 1
  - 2
...

	.end_amdgpu_metadata
